;; amdgpu-corpus repo=ROCm/rocFFT kind=compiled arch=gfx1030 opt=O3
	.text
	.amdgcn_target "amdgcn-amd-amdhsa--gfx1030"
	.amdhsa_code_object_version 6
	.protected	bluestein_single_fwd_len1584_dim1_sp_op_CI_CI ; -- Begin function bluestein_single_fwd_len1584_dim1_sp_op_CI_CI
	.globl	bluestein_single_fwd_len1584_dim1_sp_op_CI_CI
	.p2align	8
	.type	bluestein_single_fwd_len1584_dim1_sp_op_CI_CI,@function
bluestein_single_fwd_len1584_dim1_sp_op_CI_CI: ; @bluestein_single_fwd_len1584_dim1_sp_op_CI_CI
; %bb.0:
	s_load_dwordx4 s[8:11], s[4:5], 0x28
	v_mul_u32_u24_e32 v1, 0x175, v0
	v_mov_b32_e32 v72, 0
	s_mov_b32 s0, exec_lo
	v_lshrrev_b32_e32 v1, 16, v1
	v_add_nc_u32_e32 v71, s6, v1
	s_waitcnt lgkmcnt(0)
	v_cmpx_gt_u64_e64 s[8:9], v[71:72]
	s_cbranch_execz .LBB0_39
; %bb.1:
	s_clause 0x1
	s_load_dwordx4 s[0:3], s[4:5], 0x18
	s_load_dwordx2 s[6:7], s[4:5], 0x0
	v_mul_lo_u16 v1, 0xb0, v1
	v_sub_nc_u16 v22, v0, v1
	v_and_b32_e32 v95, 0xffff, v22
	v_lshlrev_b32_e32 v94, 3, v95
	s_waitcnt lgkmcnt(0)
	s_load_dwordx4 s[12:15], s[0:1], 0x0
	s_clause 0x1
	global_load_dwordx2 v[82:83], v94, s[6:7]
	global_load_dwordx2 v[72:73], v94, s[6:7] offset:1408
	v_add_co_u32 v48, s0, s6, v94
	v_add_co_ci_u32_e64 v49, null, s7, 0, s0
	v_add_co_u32 v69, vcc_lo, 0x800, v48
	v_add_co_ci_u32_e32 v70, vcc_lo, 0, v49, vcc_lo
	v_add_co_u32 v2, vcc_lo, 0x1800, v48
	v_add_co_ci_u32_e32 v3, vcc_lo, 0, v49, vcc_lo
	;; [unrolled: 2-line block ×3, first 2 shown]
	s_waitcnt lgkmcnt(0)
	v_mad_u64_u32 v[0:1], null, s14, v71, 0
	v_mad_u64_u32 v[4:5], null, s12, v95, 0
	v_add_co_u32 v67, vcc_lo, 0x1000, v48
	v_add_co_ci_u32_e32 v68, vcc_lo, 0, v49, vcc_lo
	v_add_co_u32 v6, vcc_lo, 0x2800, v48
	v_mad_u64_u32 v[8:9], null, s15, v71, v[1:2]
	v_add_co_ci_u32_e32 v7, vcc_lo, 0, v49, vcc_lo
	v_mad_u64_u32 v[9:10], null, s13, v95, v[5:6]
	s_mul_i32 s1, s13, 0x18c
	s_mul_hi_u32 s7, s12, 0x18c
	v_mov_b32_e32 v1, v8
	s_mul_i32 s0, s12, 0x18c
	s_mul_hi_u32 s9, s12, 0xfffffc0c
	s_add_i32 s1, s7, s1
	v_mov_b32_e32 v5, v9
	v_lshlrev_b64 v[0:1], 3, v[0:1]
	s_mul_i32 s8, s13, 0xfffffc0c
	s_mul_i32 s6, s12, 0xfffffc0c
	s_sub_i32 s7, s9, s12
	v_lshlrev_b64 v[4:5], 3, v[4:5]
	s_lshl_b64 s[12:13], s[0:1], 3
	v_add_co_u32 v0, vcc_lo, s10, v0
	v_add_co_ci_u32_e32 v1, vcc_lo, s11, v1, vcc_lo
	s_clause 0x1
	global_load_dwordx2 v[84:85], v[69:70], off offset:1120
	global_load_dwordx2 v[86:87], v[2:3], off offset:192
	v_add_co_u32 v0, vcc_lo, v0, v4
	v_add_co_ci_u32_e32 v1, vcc_lo, v1, v5, vcc_lo
	s_clause 0x1
	global_load_dwordx2 v[80:81], v[65:66], off offset:1312
	global_load_dwordx2 v[74:75], v[67:68], off offset:480
	v_add_co_u32 v4, vcc_lo, v0, s12
	v_add_co_ci_u32_e32 v5, vcc_lo, s13, v1, vcc_lo
	s_add_i32 s7, s7, s8
	v_add_co_u32 v8, vcc_lo, v4, s12
	v_add_co_ci_u32_e32 v9, vcc_lo, s13, v5, vcc_lo
	s_clause 0x1
	global_load_dwordx2 v[10:11], v[0:1], off
	global_load_dwordx2 v[4:5], v[4:5], off
	v_add_co_u32 v0, vcc_lo, v8, s12
	v_add_co_ci_u32_e32 v1, vcc_lo, s13, v9, vcc_lo
	s_lshl_b64 s[0:1], s[6:7], 3
	global_load_dwordx2 v[8:9], v[8:9], off
	v_add_co_u32 v12, vcc_lo, v0, s0
	global_load_dwordx2 v[14:15], v[0:1], off
	v_add_co_ci_u32_e32 v13, vcc_lo, s1, v1, vcc_lo
	v_add_co_u32 v0, vcc_lo, v12, s12
	s_load_dwordx2 s[6:7], s[4:5], 0x38
	v_add_co_ci_u32_e32 v1, vcc_lo, s13, v13, vcc_lo
	v_add_co_u32 v16, vcc_lo, v0, s12
	global_load_dwordx2 v[12:13], v[12:13], off
	v_add_co_ci_u32_e32 v17, vcc_lo, s13, v1, vcc_lo
	global_load_dwordx2 v[18:19], v[0:1], off
	v_add_co_u32 v0, vcc_lo, v16, s12
	v_add_co_ci_u32_e32 v1, vcc_lo, s13, v17, vcc_lo
	global_load_dwordx2 v[76:77], v[2:3], off offset:1600
	global_load_dwordx2 v[2:3], v[16:17], off
	global_load_dwordx2 v[78:79], v[6:7], off offset:672
	global_load_dwordx2 v[6:7], v[0:1], off
	s_load_dwordx4 s[8:11], s[2:3], 0x0
	v_cmp_gt_u16_e32 vcc_lo, 44, v22
	s_waitcnt vmcnt(9)
	v_mul_f32_e32 v16, v11, v83
	s_waitcnt vmcnt(8)
	v_mul_f32_e32 v20, v5, v85
	v_mul_f32_e32 v21, v4, v85
	;; [unrolled: 1-line block ×3, first 2 shown]
	v_fmac_f32_e32 v16, v10, v82
	v_fmac_f32_e32 v20, v4, v84
	v_fma_f32 v21, v5, v84, -v21
	s_waitcnt vmcnt(7)
	v_mul_f32_e32 v4, v9, v87
	v_mul_f32_e32 v5, v8, v87
	v_fma_f32 v17, v11, v82, -v17
	s_waitcnt vmcnt(6)
	v_mul_f32_e32 v10, v15, v81
	v_mul_f32_e32 v11, v14, v81
	v_fmac_f32_e32 v4, v8, v86
	v_fma_f32 v5, v9, v86, -v5
	ds_write_b64 v94, v[20:21] offset:3168
	v_fmac_f32_e32 v10, v14, v80
	v_fma_f32 v11, v15, v80, -v11
	ds_write_b64 v94, v[4:5] offset:6336
	s_waitcnt vmcnt(5)
	v_mul_f32_e32 v8, v13, v73
	v_mul_f32_e32 v9, v12, v73
	ds_write_b64 v94, v[10:11] offset:9504
	s_waitcnt vmcnt(4)
	v_mul_f32_e32 v4, v19, v75
	v_mul_f32_e32 v5, v18, v75
	v_fmac_f32_e32 v8, v12, v72
	s_waitcnt vmcnt(2)
	v_mul_f32_e32 v10, v3, v77
	v_mul_f32_e32 v11, v2, v77
	v_fma_f32 v9, v13, v72, -v9
	s_waitcnt vmcnt(0)
	v_mul_f32_e32 v12, v7, v79
	v_mul_f32_e32 v13, v6, v79
	v_fmac_f32_e32 v4, v18, v74
	v_fma_f32 v5, v19, v74, -v5
	v_fmac_f32_e32 v10, v2, v76
	v_fma_f32 v11, v3, v76, -v11
	;; [unrolled: 2-line block ×3, first 2 shown]
	ds_write2_b64 v94, v[16:17], v[8:9] offset1:176
	ds_write_b64 v94, v[4:5] offset:4576
	ds_write_b64 v94, v[10:11] offset:7744
	ds_write_b64 v94, v[12:13] offset:10912
	s_and_saveexec_b32 s2, vcc_lo
	s_cbranch_execz .LBB0_3
; %bb.2:
	v_add_co_u32 v0, s0, v0, s0
	v_add_co_ci_u32_e64 v1, s0, s1, v1, s0
	v_add_co_u32 v2, s0, v0, s12
	v_add_co_ci_u32_e64 v3, s0, s13, v1, s0
	global_load_dwordx2 v[0:1], v[0:1], off
	global_load_dwordx2 v[4:5], v[2:3], off
	s_clause 0x1
	global_load_dwordx2 v[6:7], v[69:70], off offset:768
	global_load_dwordx2 v[8:9], v[67:68], off offset:1888
	v_add_co_u32 v2, s0, v2, s12
	v_add_co_ci_u32_e64 v3, s0, s13, v3, s0
	v_add_co_u32 v10, s0, 0x3000, v48
	v_add_co_ci_u32_e64 v11, s0, 0, v49, s0
	;; [unrolled: 2-line block ×3, first 2 shown]
	global_load_dwordx2 v[2:3], v[2:3], off
	s_clause 0x1
	global_load_dwordx2 v[14:15], v[65:66], off offset:960
	global_load_dwordx2 v[10:11], v[10:11], off offset:32
	global_load_dwordx2 v[12:13], v[12:13], off
	s_waitcnt vmcnt(5)
	v_mul_f32_e32 v17, v0, v7
	v_mul_f32_e32 v16, v1, v7
	s_waitcnt vmcnt(4)
	v_mul_f32_e32 v7, v5, v9
	v_fma_f32 v17, v1, v6, -v17
	v_mul_f32_e32 v1, v4, v9
	v_fmac_f32_e32 v16, v0, v6
	v_fmac_f32_e32 v7, v4, v8
	v_fma_f32 v8, v5, v8, -v1
	s_waitcnt vmcnt(2)
	v_mul_f32_e32 v0, v3, v15
	v_mul_f32_e32 v6, v2, v15
	s_waitcnt vmcnt(0)
	v_mul_f32_e32 v4, v13, v11
	v_mul_f32_e32 v9, v12, v11
	v_fmac_f32_e32 v0, v2, v14
	v_fma_f32 v1, v3, v14, -v6
	v_fmac_f32_e32 v4, v12, v10
	v_fma_f32 v5, v13, v10, -v9
	ds_write_b64 v94, v[16:17] offset:2816
	ds_write_b64 v94, v[7:8] offset:5984
	;; [unrolled: 1-line block ×4, first 2 shown]
.LBB0_3:
	s_or_b32 exec_lo, exec_lo, s2
	v_add_nc_u32_e32 v4, 0xc00, v94
	v_add_nc_u32_e32 v8, 0x1800, v94
	;; [unrolled: 1-line block ×3, first 2 shown]
	s_waitcnt lgkmcnt(0)
	s_barrier
	buffer_gl0_inv
	ds_read2_b64 v[0:3], v94 offset1:176
	ds_read2_b64 v[4:7], v4 offset0:12 offset1:188
	ds_read2_b64 v[8:11], v8 offset0:24 offset1:200
	;; [unrolled: 1-line block ×3, first 2 shown]
                                        ; implicit-def: $vgpr20
                                        ; implicit-def: $vgpr22
                                        ; implicit-def: $vgpr18
                                        ; implicit-def: $vgpr16
	s_and_saveexec_b32 s0, vcc_lo
	s_cbranch_execz .LBB0_5
; %bb.4:
	ds_read_b64 v[16:17], v94 offset:2816
	ds_read_b64 v[18:19], v94 offset:5984
	ds_read_b64 v[22:23], v94 offset:9152
	ds_read_b64 v[20:21], v94 offset:12320
.LBB0_5:
	s_or_b32 exec_lo, exec_lo, s0
	s_waitcnt lgkmcnt(1)
	v_sub_f32_e32 v25, v0, v8
	v_sub_f32_e32 v26, v1, v9
	s_waitcnt lgkmcnt(0)
	v_sub_f32_e32 v27, v4, v12
	v_sub_f32_e32 v28, v5, v13
	s_load_dwordx2 s[2:3], s[4:5], 0x8
	v_fma_f32 v0, v0, 2.0, -v25
	v_fma_f32 v1, v1, 2.0, -v26
	;; [unrolled: 1-line block ×4, first 2 shown]
	v_sub_f32_e32 v29, v16, v22
	v_sub_f32_e32 v30, v17, v23
	v_add_co_u32 v24, null, 0xb0, v95
	v_sub_f32_e32 v8, v0, v4
	v_sub_f32_e32 v9, v1, v5
	;; [unrolled: 1-line block ×4, first 2 shown]
	v_add_f32_e32 v11, v26, v27
	v_fma_f32 v12, v0, 2.0, -v8
	v_fma_f32 v13, v1, 2.0, -v9
	v_sub_f32_e32 v0, v2, v10
	v_sub_f32_e32 v1, v6, v14
	;; [unrolled: 1-line block ×3, first 2 shown]
	v_fma_f32 v3, v3, 2.0, -v5
	v_fma_f32 v7, v7, 2.0, -v4
	;; [unrolled: 1-line block ×6, first 2 shown]
	v_sub_f32_e32 v26, v3, v7
	v_sub_f32_e32 v7, v18, v20
	;; [unrolled: 1-line block ×4, first 2 shown]
	v_add_f32_e32 v28, v5, v1
	v_fma_f32 v1, v17, 2.0, -v30
	v_add_co_u32 v44, null, 0x160, v95
	v_fma_f32 v20, v2, 2.0, -v25
	v_fma_f32 v2, v16, 2.0, -v29
	;; [unrolled: 1-line block ×4, first 2 shown]
	v_sub_f32_e32 v27, v0, v4
	v_fma_f32 v23, v5, 2.0, -v28
	v_sub_f32_e32 v6, v29, v6
	v_sub_f32_e32 v4, v2, v16
	;; [unrolled: 1-line block ×3, first 2 shown]
	v_add_f32_e32 v7, v7, v30
	v_lshlrev_b16 v16, 2, v95
	v_mov_b32_e32 v17, 3
	v_fma_f32 v21, v3, 2.0, -v26
	v_fma_f32 v22, v0, 2.0, -v27
	;; [unrolled: 1-line block ×6, first 2 shown]
	v_lshlrev_b32_sdwa v101, v17, v16 dst_sel:DWORD dst_unused:UNUSED_PAD src0_sel:DWORD src1_sel:WORD_0
	v_lshlrev_b32_e32 v102, 5, v24
	v_lshlrev_b32_e32 v100, 5, v44
	s_waitcnt lgkmcnt(0)
	s_barrier
	buffer_gl0_inv
	ds_write_b128 v101, v[12:15]
	ds_write_b128 v101, v[8:11] offset:16
	ds_write_b128 v102, v[20:23]
	ds_write_b128 v102, v[25:28] offset:16
	s_and_saveexec_b32 s0, vcc_lo
	s_cbranch_execz .LBB0_7
; %bb.6:
	ds_write_b128 v100, v[0:3]
	ds_write_b128 v100, v[4:7] offset:16
.LBB0_7:
	s_or_b32 exec_lo, exec_lo, s0
	v_add_nc_u32_e32 v8, 0x1800, v94
	v_add_nc_u32_e32 v9, 0xa00, v94
	v_add_nc_u32_e32 v16, 0x2200, v94
	s_waitcnt lgkmcnt(0)
	s_barrier
	buffer_gl0_inv
	ds_read2_b64 v[12:15], v94 offset1:176
	ds_read2_b64 v[20:23], v8 offset0:24 offset1:200
	ds_read2_b64 v[8:11], v9 offset0:32 offset1:208
	;; [unrolled: 1-line block ×3, first 2 shown]
	v_cmp_gt_u16_e64 s0, 0x58, v95
	s_and_saveexec_b32 s1, s0
	s_cbranch_execz .LBB0_9
; %bb.8:
	ds_read_b64 v[0:1], v94 offset:5632
	ds_read_b64 v[2:3], v94 offset:11968
.LBB0_9:
	s_or_b32 exec_lo, exec_lo, s1
	v_and_b32_e32 v64, 3, v95
	v_lshlrev_b32_e32 v46, 1, v95
	v_lshlrev_b32_e32 v45, 1, v24
	;; [unrolled: 1-line block ×3, first 2 shown]
	v_add_co_u32 v26, null, 0x2c0, v95
	v_lshlrev_b32_e32 v25, 3, v64
	v_and_or_b32 v27, 0x1f8, v46, v64
	v_and_or_b32 v28, 0x3f8, v45, v64
	v_and_or_b32 v29, 0x7f8, v24, v64
	v_lshlrev_b32_e32 v98, 1, v26
	global_load_dwordx2 v[62:63], v25, s[2:3]
	v_add_nc_u32_e32 v25, 0x420, v46
	v_lshlrev_b32_e32 v106, 3, v27
	v_lshlrev_b32_e32 v105, 3, v28
	;; [unrolled: 1-line block ×3, first 2 shown]
	s_waitcnt vmcnt(0) lgkmcnt(0)
	v_and_or_b32 v26, 0x7f8, v25, v64
	s_barrier
	buffer_gl0_inv
	v_lshlrev_b32_e32 v103, 3, v26
	v_mul_f32_e32 v26, v21, v63
	v_mul_f32_e32 v27, v20, v63
	;; [unrolled: 1-line block ×10, first 2 shown]
	v_fma_f32 v20, v20, v62, -v26
	v_fmac_f32_e32 v27, v21, v62
	v_fma_f32 v21, v22, v62, -v28
	v_fmac_f32_e32 v29, v23, v62
	v_fma_f32 v22, v16, v62, -v30
	v_fma_f32 v23, v18, v62, -v32
	;; [unrolled: 1-line block ×3, first 2 shown]
	v_fmac_f32_e32 v35, v3, v62
	v_fmac_f32_e32 v31, v17, v62
	;; [unrolled: 1-line block ×3, first 2 shown]
	v_sub_f32_e32 v2, v12, v20
	v_sub_f32_e32 v3, v13, v27
	;; [unrolled: 1-line block ×10, first 2 shown]
	v_fma_f32 v12, v12, 2.0, -v2
	v_fma_f32 v13, v13, 2.0, -v3
	;; [unrolled: 1-line block ×10, first 2 shown]
	ds_write2_b64 v106, v[12:13], v[2:3] offset1:4
	ds_write2_b64 v105, v[14:15], v[16:17] offset1:4
	;; [unrolled: 1-line block ×4, first 2 shown]
	s_and_saveexec_b32 s1, s0
	s_cbranch_execz .LBB0_11
; %bb.10:
	v_and_or_b32 v0, 0x7f8, v98, v64
	v_lshlrev_b32_e32 v0, 3, v0
	ds_write2_b64 v0, v[20:21], v[22:23] offset1:4
.LBB0_11:
	s_or_b32 exec_lo, exec_lo, s1
	v_add_nc_u32_e32 v0, 0x1800, v94
	v_add_nc_u32_e32 v1, 0xa00, v94
	;; [unrolled: 1-line block ×3, first 2 shown]
	s_waitcnt lgkmcnt(0)
	s_barrier
	buffer_gl0_inv
	ds_read2_b64 v[8:11], v94 offset1:176
	ds_read2_b64 v[16:19], v0 offset0:24 offset1:200
	ds_read2_b64 v[0:3], v1 offset0:32 offset1:208
	ds_read2_b64 v[12:15], v12 offset0:56 offset1:232
	s_and_saveexec_b32 s1, s0
	s_cbranch_execz .LBB0_13
; %bb.12:
	ds_read_b64 v[20:21], v94 offset:5632
	ds_read_b64 v[22:23], v94 offset:11968
.LBB0_13:
	s_or_b32 exec_lo, exec_lo, s1
	v_and_b32_e32 v99, 7, v95
	v_lshlrev_b32_e32 v26, 3, v99
	v_and_or_b32 v27, 0x3f0, v45, v99
	v_and_or_b32 v24, 0x7f0, v24, v99
	;; [unrolled: 1-line block ×3, first 2 shown]
	global_load_dwordx2 v[90:91], v26, s[2:3] offset:32
	v_and_or_b32 v26, 0x1f0, v46, v99
	v_lshlrev_b32_e32 v109, 3, v27
	v_lshlrev_b32_e32 v108, 3, v24
	;; [unrolled: 1-line block ×3, first 2 shown]
	s_waitcnt vmcnt(0) lgkmcnt(0)
	v_lshlrev_b32_e32 v110, 3, v26
	s_barrier
	buffer_gl0_inv
	v_mul_f32_e32 v24, v17, v91
	v_mul_f32_e32 v25, v16, v91
	v_mul_f32_e32 v26, v19, v91
	v_mul_f32_e32 v28, v18, v91
	v_mul_f32_e32 v27, v13, v91
	v_mul_f32_e32 v29, v12, v91
	v_mul_f32_e32 v30, v15, v91
	v_mul_f32_e32 v31, v14, v91
	v_mul_f32_e32 v32, v23, v91
	v_mul_f32_e32 v33, v22, v91
	v_fma_f32 v16, v16, v90, -v24
	v_fmac_f32_e32 v25, v17, v90
	v_fma_f32 v17, v18, v90, -v26
	v_fmac_f32_e32 v28, v19, v90
	;; [unrolled: 2-line block ×5, first 2 shown]
	v_sub_f32_e32 v26, v8, v16
	v_sub_f32_e32 v27, v9, v25
	;; [unrolled: 1-line block ×10, first 2 shown]
	v_fma_f32 v24, v8, 2.0, -v26
	v_fma_f32 v25, v9, 2.0, -v27
	;; [unrolled: 1-line block ×10, first 2 shown]
	ds_write2_b64 v110, v[24:25], v[26:27] offset1:8
	ds_write2_b64 v109, v[40:41], v[42:43] offset1:8
	;; [unrolled: 1-line block ×4, first 2 shown]
	s_and_saveexec_b32 s1, s0
	s_cbranch_execz .LBB0_15
; %bb.14:
	v_and_or_b32 v0, 0x7f0, v98, v99
	v_lshlrev_b32_e32 v0, 3, v0
	ds_write2_b64 v0, v[28:29], v[30:31] offset1:8
.LBB0_15:
	s_or_b32 exec_lo, exec_lo, s1
	v_cmp_gt_u16_e64 s1, 0x90, v95
	s_waitcnt lgkmcnt(0)
	s_barrier
	buffer_gl0_inv
	s_and_saveexec_b32 s4, s1
	s_cbranch_execz .LBB0_17
; %bb.16:
	v_add_nc_u32_e32 v0, 0x800, v94
	v_add_nc_u32_e32 v1, 0x1000, v94
	;; [unrolled: 1-line block ×4, first 2 shown]
	ds_read2_b64 v[24:27], v94 offset1:144
	ds_read2_b64 v[40:43], v0 offset0:32 offset1:176
	ds_read2_b64 v[36:39], v1 offset0:64 offset1:208
	;; [unrolled: 1-line block ×3, first 2 shown]
	ds_read2_b64 v[28:31], v3 offset1:144
	ds_read_b64 v[4:5], v94 offset:11520
.LBB0_17:
	s_or_b32 exec_lo, exec_lo, s4
	v_and_b32_e32 v96, 15, v95
	v_mad_u64_u32 v[20:21], null, 0x50, v96, s[2:3]
	s_clause 0x4
	global_load_dwordx4 v[16:19], v[20:21], off offset:96
	global_load_dwordx4 v[8:11], v[20:21], off offset:112
	global_load_dwordx4 v[0:3], v[20:21], off offset:128
	global_load_dwordx4 v[12:15], v[20:21], off offset:144
	global_load_dwordx4 v[20:23], v[20:21], off offset:160
	s_waitcnt vmcnt(0) lgkmcnt(0)
	s_barrier
	buffer_gl0_inv
	v_mul_f32_e32 v59, v27, v17
	v_mul_f32_e32 v58, v26, v17
	;; [unrolled: 1-line block ×8, first 2 shown]
	v_fma_f32 v60, v26, v16, -v59
	v_fmac_f32_e32 v58, v27, v16
	v_fma_f32 v26, v4, v22, -v113
	v_fmac_f32_e32 v47, v5, v22
	v_mul_f32_e32 v88, v43, v9
	v_mul_f32_e32 v56, v42, v9
	;; [unrolled: 1-line block ×4, first 2 shown]
	v_fma_f32 v59, v40, v18, -v61
	v_fmac_f32_e32 v57, v41, v18
	v_fma_f32 v27, v30, v20, -v112
	v_fmac_f32_e32 v50, v31, v20
	v_sub_f32_e32 v118, v60, v26
	v_sub_f32_e32 v126, v58, v47
	v_mul_f32_e32 v89, v37, v11
	v_mul_f32_e32 v55, v36, v11
	;; [unrolled: 1-line block ×6, first 2 shown]
	v_fma_f32 v41, v42, v8, -v88
	v_fmac_f32_e32 v56, v43, v8
	v_fma_f32 v28, v28, v14, -v111
	v_fmac_f32_e32 v51, v29, v14
	v_add_f32_e32 v29, v60, v26
	v_add_f32_e32 v31, v58, v47
	v_sub_f32_e32 v119, v59, v27
	v_sub_f32_e32 v130, v57, v50
	v_mul_f32_e32 v115, 0xbf0a6770, v126
	v_mul_f32_e32 v117, 0xbf0a6770, v118
	;; [unrolled: 1-line block ×6, first 2 shown]
	v_fma_f32 v40, v36, v10, -v89
	v_fmac_f32_e32 v55, v37, v10
	v_fma_f32 v36, v32, v2, -v93
	v_fmac_f32_e32 v53, v33, v2
	;; [unrolled: 2-line block ×3, first 2 shown]
	v_add_f32_e32 v30, v59, v27
	v_add_f32_e32 v33, v57, v50
	v_sub_f32_e32 v123, v41, v28
	v_sub_f32_e32 v132, v56, v51
	v_mul_f32_e32 v114, 0xbf68dda4, v130
	v_mul_f32_e32 v116, 0xbf68dda4, v119
	v_mul_f32_e32 v121, 0xbf4178ce, v130
	v_mul_f32_e32 v128, 0xbf4178ce, v119
	v_fmamk_f32 v4, v29, 0x3f575c64, v115
	v_fma_f32 v5, 0x3f575c64, v31, -v117
	v_fmamk_f32 v141, v29, 0x3ed4b147, v122
	v_fma_f32 v144, 0x3ed4b147, v31, -v129
	v_fma_f32 v37, v38, v0, -v92
	v_fmac_f32_e32 v54, v39, v0
	v_add_f32_e32 v34, v41, v28
	v_add_f32_e32 v38, v56, v51
	v_sub_f32_e32 v127, v40, v32
	v_sub_f32_e32 v133, v55, v52
	v_mul_f32_e32 v89, 0xbf7d64f0, v132
	v_mul_f32_e32 v112, 0xbf7d64f0, v123
	;; [unrolled: 1-line block ×4, first 2 shown]
	v_fmamk_f32 v92, v30, 0x3ed4b147, v114
	v_fma_f32 v93, 0x3ed4b147, v33, -v116
	v_fmamk_f32 v145, v30, 0xbf27a4f4, v121
	v_fma_f32 v146, 0xbf27a4f4, v33, -v128
	v_add_f32_e32 v4, v24, v4
	v_add_f32_e32 v5, v25, v5
	;; [unrolled: 1-line block ×6, first 2 shown]
	v_sub_f32_e32 v125, v37, v36
	v_sub_f32_e32 v135, v54, v53
	v_mul_f32_e32 v61, 0xbf4178ce, v133
	v_mul_f32_e32 v111, 0xbf4178ce, v127
	;; [unrolled: 1-line block ×4, first 2 shown]
	v_fmamk_f32 v97, v34, 0xbe11bafb, v89
	v_fma_f32 v138, 0xbe11bafb, v38, -v112
	v_fmamk_f32 v147, v34, 0xbf75a155, v120
	v_fma_f32 v148, 0xbf75a155, v38, -v134
	v_add_f32_e32 v4, v92, v4
	v_add_f32_e32 v5, v93, v5
	;; [unrolled: 1-line block ×6, first 2 shown]
	v_mul_f32_e32 v88, 0xbe903f40, v135
	v_mul_f32_e32 v113, 0xbe903f40, v125
	;; [unrolled: 1-line block ×4, first 2 shown]
	v_fmamk_f32 v139, v35, 0xbf27a4f4, v61
	v_fma_f32 v140, 0xbf27a4f4, v42, -v111
	v_fmamk_f32 v149, v35, 0xbe11bafb, v131
	v_fma_f32 v150, 0xbe11bafb, v42, -v136
	v_add_f32_e32 v4, v97, v4
	v_add_f32_e32 v5, v138, v5
	;; [unrolled: 1-line block ×4, first 2 shown]
	v_fmamk_f32 v142, v39, 0xbf75a155, v88
	v_fma_f32 v143, 0xbf75a155, v43, -v113
	v_fmamk_f32 v141, v39, 0x3f575c64, v124
	v_fma_f32 v97, 0x3f575c64, v43, -v137
	v_add_f32_e32 v4, v139, v4
	v_add_f32_e32 v5, v140, v5
	;; [unrolled: 1-line block ×8, first 2 shown]
	v_lshrrev_b32_e32 v97, 4, v95
	s_and_saveexec_b32 s4, s1
	s_cbranch_execz .LBB0_19
; %bb.18:
	v_mul_f32_e32 v152, 0xbe11bafb, v31
	v_mul_f32_e32 v157, 0xbf75a155, v33
	;; [unrolled: 1-line block ×5, first 2 shown]
	v_fmamk_f32 v138, v118, 0x3f7d64f0, v152
	v_fmamk_f32 v139, v119, 0xbe903f40, v157
	v_mul_f32_e32 v167, 0x3e903f40, v130
	v_fmamk_f32 v140, v29, 0xbe11bafb, v164
	v_mul_f32_e32 v169, 0x3f68dda4, v132
	v_add_f32_e32 v138, v25, v138
	v_mul_f32_e32 v170, 0xbf27a4f4, v43
	v_fmamk_f32 v141, v30, 0xbf75a155, v167
	v_add_f32_e32 v140, v24, v140
	v_mul_f32_e32 v171, 0xbf0a6770, v133
	v_add_f32_e32 v138, v139, v138
	v_fmamk_f32 v139, v123, 0xbf68dda4, v161
	v_fmamk_f32 v142, v125, 0x3f4178ce, v170
	v_add_f32_e32 v140, v141, v140
	v_fmamk_f32 v141, v34, 0x3ed4b147, v169
	v_mul_f32_e32 v173, 0x3f575c64, v33
	v_add_f32_e32 v138, v139, v138
	v_fmamk_f32 v139, v127, 0x3f0a6770, v165
	v_mul_f32_e32 v174, 0xbf27a4f4, v38
	;; [unrolled: 3-line block ×3, first 2 shown]
	v_add_f32_e32 v138, v139, v138
	v_mul_f32_e32 v139, 0xbf75a155, v31
	v_mul_f32_e32 v180, 0xbe11bafb, v43
	v_add_f32_e32 v175, v141, v140
	v_mul_f32_e32 v141, 0xbe903f40, v126
	v_add_f32_e32 v138, v142, v138
	v_fmamk_f32 v172, v118, 0x3e903f40, v139
	v_fmac_f32_e32 v139, 0xbe903f40, v118
	v_fmamk_f32 v181, v30, 0x3f575c64, v179
	v_fmamk_f32 v178, v29, 0xbf75a155, v141
	v_mul_f32_e32 v182, 0xbf4178ce, v132
	v_add_f32_e32 v142, v25, v172
	v_fmamk_f32 v172, v119, 0xbf0a6770, v173
	v_add_f32_e32 v139, v25, v139
	v_add_f32_e32 v178, v24, v178
	v_fmac_f32_e32 v173, 0x3f0a6770, v119
	v_fma_f32 v141, 0xbf75a155, v29, -v141
	v_add_f32_e32 v140, v172, v142
	v_fmamk_f32 v142, v123, 0x3f4178ce, v174
	v_mul_f32_e32 v172, 0x3ed4b147, v42
	v_add_f32_e32 v178, v181, v178
	v_fmamk_f32 v181, v34, 0xbf27a4f4, v182
	v_add_f32_e32 v139, v173, v139
	v_add_f32_e32 v140, v142, v140
	v_fmamk_f32 v142, v127, 0xbf68dda4, v172
	v_fmac_f32_e32 v174, 0xbf4178ce, v123
	v_add_f32_e32 v141, v24, v141
	v_fma_f32 v179, 0x3f575c64, v30, -v179
	v_add_f32_e32 v178, v181, v178
	v_add_f32_e32 v140, v142, v140
	v_fmamk_f32 v142, v125, 0x3f7d64f0, v180
	v_mul_f32_e32 v181, 0xbf7d64f0, v135
	v_add_f32_e32 v139, v174, v139
	v_fmac_f32_e32 v172, 0x3f68dda4, v127
	v_add_f32_e32 v141, v179, v141
	v_add_f32_e32 v140, v142, v140
	v_mul_f32_e32 v142, 0x3f68dda4, v133
	v_fma_f32 v174, 0xbf27a4f4, v34, -v182
	v_add_f32_e32 v172, v172, v139
	v_fmac_f32_e32 v180, 0xbf7d64f0, v125
	v_mul_f32_e32 v179, 0xbf4178ce, v118
	v_fmamk_f32 v173, v35, 0x3ed4b147, v142
	v_add_f32_e32 v141, v174, v141
	v_fma_f32 v174, 0x3ed4b147, v35, -v142
	v_add_f32_e32 v142, v180, v172
	v_fmamk_f32 v172, v31, 0xbf27a4f4, v179
	v_add_f32_e32 v173, v173, v178
	v_fmamk_f32 v178, v39, 0xbe11bafb, v181
	v_add_f32_e32 v141, v174, v141
	v_fma_f32 v174, 0xbe11bafb, v39, -v181
	v_mul_f32_e32 v126, 0xbf4178ce, v126
	v_add_f32_e32 v172, v25, v172
	v_add_f32_e32 v139, v178, v173
	v_mul_f32_e32 v173, 0x3f7d64f0, v119
	v_mul_f32_e32 v180, 0xbf0a6770, v123
	v_add_f32_e32 v141, v174, v141
	v_fma_f32 v174, 0xbf27a4f4, v29, -v126
	v_mul_f32_e32 v130, 0x3f7d64f0, v130
	v_fmamk_f32 v178, v33, 0xbe11bafb, v173
	v_mul_f32_e32 v181, 0xbe903f40, v127
	v_mul_f32_e32 v132, 0xbf0a6770, v132
	v_add_f32_e32 v174, v24, v174
	v_fma_f32 v182, 0xbe11bafb, v30, -v130
	v_add_f32_e32 v172, v178, v172
	v_fmamk_f32 v178, v38, 0x3f575c64, v180
	v_fmac_f32_e32 v152, 0xbf7d64f0, v118
	v_fmamk_f32 v118, v42, 0xbf75a155, v181
	v_add_f32_e32 v174, v182, v174
	v_mul_f32_e32 v133, 0xbe903f40, v133
	v_add_f32_e32 v172, v178, v172
	v_fma_f32 v178, 0x3f575c64, v34, -v132
	v_add_f32_e32 v152, v25, v152
	v_fmac_f32_e32 v157, 0x3e903f40, v119
	v_mul_f32_e32 v182, 0x3f68dda4, v125
	v_fmac_f32_e32 v161, 0x3f68dda4, v123
	v_add_f32_e32 v119, v178, v174
	v_fma_f32 v174, 0xbf75a155, v35, -v133
	v_add_f32_e32 v152, v157, v152
	v_add_f32_e32 v118, v118, v172
	v_fmamk_f32 v123, v43, 0x3ed4b147, v182
	v_mul_f32_e32 v146, 0x3ed4b147, v31
	v_add_f32_e32 v157, v174, v119
	v_add_f32_e32 v152, v161, v152
	v_fmac_f32_e32 v165, 0xbf0a6770, v127
	v_add_f32_e32 v119, v123, v118
	v_fma_f32 v123, 0xbe11bafb, v29, -v164
	v_mul_f32_e32 v145, 0x3ed4b147, v29
	v_add_f32_e32 v127, v129, v146
	v_add_f32_e32 v129, v165, v152
	v_fmac_f32_e32 v170, 0xbf4178ce, v125
	v_add_f32_e32 v125, v24, v123
	v_fma_f32 v146, 0xbf75a155, v30, -v167
	v_mul_f32_e32 v149, 0xbf27a4f4, v30
	v_sub_f32_e32 v122, v145, v122
	v_add_f32_e32 v123, v170, v129
	v_fma_f32 v129, 0x3ed4b147, v34, -v169
	v_add_f32_e32 v125, v146, v125
	v_mul_f32_e32 v176, 0xbf4178ce, v135
	v_add_f32_e32 v122, v24, v122
	v_sub_f32_e32 v121, v149, v121
	v_add_f32_e32 v60, v24, v60
	v_add_f32_e32 v125, v129, v125
	v_fma_f32 v129, 0x3f575c64, v35, -v171
	v_mul_f32_e32 v143, 0x3f575c64, v29
	v_add_f32_e32 v121, v121, v122
	v_add_f32_e32 v59, v60, v59
	v_mul_f32_e32 v144, 0x3f575c64, v31
	v_add_f32_e32 v122, v129, v125
	v_fma_f32 v125, 0xbf27a4f4, v39, -v176
	v_mul_f32_e32 v147, 0x3ed4b147, v30
	v_add_f32_e32 v41, v59, v41
	v_mul_f32_e32 v148, 0x3ed4b147, v33
	v_add_f32_e32 v117, v117, v144
	v_add_f32_e32 v122, v125, v122
	;; [unrolled: 1-line block ×4, first 2 shown]
	v_sub_f32_e32 v115, v143, v115
	v_fma_f32 v31, 0xbf27a4f4, v31, -v179
	v_mul_f32_e32 v150, 0xbf27a4f4, v33
	v_add_f32_e32 v57, v125, v57
	v_add_f32_e32 v37, v40, v37
	v_fmac_f32_e32 v126, 0xbf27a4f4, v29
	v_mul_f32_e32 v151, 0xbe11bafb, v34
	v_mul_f32_e32 v153, 0xbe11bafb, v38
	v_add_f32_e32 v56, v57, v56
	v_add_f32_e32 v127, v25, v127
	;; [unrolled: 1-line block ×6, first 2 shown]
	v_sub_f32_e32 v114, v147, v114
	v_add_f32_e32 v29, v37, v36
	v_add_f32_e32 v25, v25, v31
	v_fma_f32 v31, 0xbe11bafb, v33, -v173
	v_add_f32_e32 v54, v55, v54
	v_mul_f32_e32 v154, 0xbf75a155, v34
	v_mul_f32_e32 v155, 0xbf75a155, v38
	v_add_f32_e32 v128, v128, v150
	v_add_f32_e32 v24, v24, v126
	;; [unrolled: 1-line block ×3, first 2 shown]
	v_fmac_f32_e32 v130, 0xbe11bafb, v30
	v_mul_f32_e32 v156, 0xbf27a4f4, v35
	v_mul_f32_e32 v158, 0xbf27a4f4, v42
	v_add_f32_e32 v57, v116, v117
	v_add_f32_e32 v112, v112, v153
	v_add_f32_e32 v114, v114, v115
	v_sub_f32_e32 v56, v151, v89
	v_add_f32_e32 v52, v53, v52
	v_add_f32_e32 v29, v29, v32
	;; [unrolled: 1-line block ×3, first 2 shown]
	v_fma_f32 v31, 0x3f575c64, v38, -v180
	v_mul_f32_e32 v159, 0xbe11bafb, v35
	v_mul_f32_e32 v160, 0xbe11bafb, v42
	v_add_f32_e32 v127, v128, v127
	v_add_f32_e32 v128, v134, v155
	v_sub_f32_e32 v120, v154, v120
	v_add_f32_e32 v24, v130, v24
	v_fmac_f32_e32 v132, 0x3f575c64, v34
	v_mul_f32_e32 v162, 0xbf75a155, v39
	v_mul_f32_e32 v163, 0xbf75a155, v43
	v_add_f32_e32 v57, v112, v57
	v_add_f32_e32 v60, v111, v158
	;; [unrolled: 1-line block ×3, first 2 shown]
	v_sub_f32_e32 v56, v156, v61
	v_add_f32_e32 v51, v52, v51
	v_add_f32_e32 v28, v29, v28
	;; [unrolled: 1-line block ×3, first 2 shown]
	v_fma_f32 v30, 0xbf75a155, v42, -v181
	v_mul_u32_u24_e32 v31, 0xb0, v97
	v_mul_f32_e32 v166, 0x3f575c64, v39
	v_mul_f32_e32 v168, 0x3f575c64, v43
	v_add_f32_e32 v127, v128, v127
	v_add_f32_e32 v128, v136, v160
	v_add_f32_e32 v120, v120, v121
	v_sub_f32_e32 v121, v159, v131
	v_mul_f32_e32 v135, 0x3f68dda4, v135
	v_add_f32_e32 v24, v132, v24
	v_fmac_f32_e32 v133, 0xbf75a155, v35
	v_add_f32_e32 v57, v60, v57
	v_add_f32_e32 v54, v113, v163
	;; [unrolled: 1-line block ×3, first 2 shown]
	v_sub_f32_e32 v56, v162, v88
	v_add_f32_e32 v33, v51, v50
	v_add_f32_e32 v27, v28, v27
	;; [unrolled: 1-line block ×3, first 2 shown]
	v_or_b32_e32 v29, v31, v96
	v_add_f32_e32 v127, v128, v127
	v_add_f32_e32 v128, v137, v168
	;; [unrolled: 1-line block ×3, first 2 shown]
	v_sub_f32_e32 v121, v166, v124
	v_fma_f32 v172, 0x3ed4b147, v39, -v135
	v_fma_f32 v30, 0x3ed4b147, v43, -v182
	v_add_f32_e32 v31, v133, v24
	v_fmac_f32_e32 v135, 0x3ed4b147, v39
	v_fmamk_f32 v177, v39, 0xbf27a4f4, v176
	v_add_f32_e32 v41, v54, v57
	v_add_f32_e32 v40, v56, v55
	;; [unrolled: 1-line block ×4, first 2 shown]
	v_lshlrev_b32_e32 v29, 3, v29
	v_add_f32_e32 v58, v128, v127
	v_add_f32_e32 v57, v121, v120
	;; [unrolled: 1-line block ×6, first 2 shown]
	ds_write2_b64 v29, v[24:25], v[40:41] offset1:16
	ds_write2_b64 v29, v[57:58], v[122:123] offset0:32 offset1:48
	ds_write2_b64 v29, v[118:119], v[141:142] offset0:64 offset1:80
	;; [unrolled: 1-line block ×4, first 2 shown]
	ds_write_b64 v29, v[92:93] offset:1280
.LBB0_19:
	s_or_b32 exec_lo, exec_lo, s4
	v_mov_b32_e32 v28, 0xba2f
	v_lshlrev_b32_e32 v52, 3, v46
	s_waitcnt lgkmcnt(0)
	s_barrier
	buffer_gl0_inv
	v_mul_u32_u24_sdwa v28, v44, v28 dst_sel:DWORD dst_unused:UNUSED_PAD src0_sel:WORD_0 src1_sel:DWORD
	global_load_dwordx4 v[24:27], v52, s[2:3] offset:1376
	v_add_nc_u32_e32 v56, 0xa00, v94
	v_add_nc_u32_e32 v57, 0x2000, v94
	;; [unrolled: 1-line block ×3, first 2 shown]
	v_lshrrev_b32_e32 v28, 23, v28
	ds_read2_b64 v[32:35], v94 offset1:176
	ds_read_b64 v[50:51], v94 offset:11264
	v_lshlrev_b32_e32 v53, 3, v45
	v_lshlrev_b32_e32 v58, 4, v44
	v_mul_lo_u16 v28, 0xb0, v28
	v_mov_b32_e32 v55, 3
	v_add_nc_u32_e32 v132, 0x1100, v94
	v_add_nc_u32_e32 v133, 0x1e00, v94
	v_sub_nc_u16 v54, v44, v28
	v_lshlrev_b16 v28, 4, v54
	v_lshlrev_b32_sdwa v111, v55, v54 dst_sel:DWORD dst_unused:UNUSED_PAD src0_sel:DWORD src1_sel:WORD_0
	v_and_b32_e32 v28, 0xffff, v28
	v_add_co_u32 v28, s4, s2, v28
	v_add_co_ci_u32_e64 v29, null, s3, 0, s4
	v_add_co_u32 v52, s4, s2, v52
	v_add_co_ci_u32_e64 v59, null, s3, 0, s4
	global_load_dwordx4 v[28:31], v[28:29], off offset:1376
	ds_read2_b64 v[36:39], v56 offset0:32 offset1:208
	ds_read2_b64 v[40:43], v57 offset0:32 offset1:208
	;; [unrolled: 1-line block ×3, first 2 shown]
	v_add_co_u32 v60, s4, s2, v53
	v_add_co_u32 v58, s2, s2, v58
	v_add_co_ci_u32_e64 v61, null, s3, 0, s4
	v_add_co_ci_u32_e64 v88, null, s3, 0, s2
	v_add_co_u32 v52, s2, 0x1000, v52
	v_add_co_ci_u32_e64 v53, s2, 0, v59, s2
	v_add_co_u32 v54, s2, 0x1000, v60
	v_add_co_ci_u32_e64 v55, s2, 0, v61, s2
	v_add_nc_u32_e32 v59, 0x2000, v111
	s_waitcnt vmcnt(0) lgkmcnt(0)
	s_barrier
	buffer_gl0_inv
	v_mul_f32_e32 v61, v38, v25
	v_mul_f32_e32 v112, v40, v27
	;; [unrolled: 1-line block ×5, first 2 shown]
	v_fmac_f32_e32 v61, v39, v24
	v_fmac_f32_e32 v112, v41, v26
	v_mul_f32_e32 v115, v44, v25
	v_mul_f32_e32 v116, v43, v27
	;; [unrolled: 1-line block ×3, first 2 shown]
	v_fma_f32 v38, v38, v24, -v60
	v_fma_f32 v39, v40, v26, -v89
	;; [unrolled: 1-line block ×3, first 2 shown]
	v_add_f32_e32 v60, v61, v112
	v_fmac_f32_e32 v115, v45, v24
	v_fma_f32 v41, v42, v26, -v116
	v_fmac_f32_e32 v117, v43, v26
	v_add_f32_e32 v42, v32, v38
	v_add_f32_e32 v43, v38, v39
	v_sub_f32_e32 v44, v61, v112
	v_add_f32_e32 v45, v33, v61
	v_sub_f32_e32 v61, v38, v39
	v_add_f32_e32 v89, v34, v40
	v_fma_f32 v33, -0.5, v60, v33
	v_add_f32_e32 v113, v40, v41
	v_sub_f32_e32 v119, v40, v41
	v_add_f32_e32 v38, v42, v39
	v_fma_f32 v32, -0.5, v43, v32
	v_add_f32_e32 v39, v45, v112
	v_add_f32_e32 v40, v89, v41
	v_fmamk_f32 v43, v61, 0xbf5db3d7, v33
	v_fmac_f32_e32 v33, 0x3f5db3d7, v61
	v_sub_f32_e32 v116, v115, v117
	v_add_f32_e32 v118, v35, v115
	v_add_f32_e32 v115, v115, v117
	v_fma_f32 v34, -0.5, v113, v34
	v_fmamk_f32 v42, v44, 0x3f5db3d7, v32
	v_mul_f32_e32 v45, v47, v29
	v_mul_f32_e32 v60, v51, v31
	v_mul_f32_e32 v61, v46, v29
	v_mul_f32_e32 v89, v50, v31
	v_fmac_f32_e32 v35, -0.5, v115
	v_fma_f32 v46, v46, v28, -v45
	v_fma_f32 v50, v50, v30, -v60
	v_fmac_f32_e32 v61, v47, v28
	v_fmac_f32_e32 v89, v51, v30
	v_add_f32_e32 v41, v118, v117
	v_add_f32_e32 v51, v36, v46
	;; [unrolled: 1-line block ×3, first 2 shown]
	v_sub_f32_e32 v113, v46, v50
	v_add_f32_e32 v60, v61, v89
	v_sub_f32_e32 v112, v61, v89
	v_add_f32_e32 v61, v37, v61
	v_fma_f32 v36, -0.5, v47, v36
	v_fmac_f32_e32 v32, 0xbf5db3d7, v44
	v_fmac_f32_e32 v37, -0.5, v60
	v_fmamk_f32 v44, v116, 0x3f5db3d7, v34
	v_fmac_f32_e32 v34, 0xbf5db3d7, v116
	v_fmamk_f32 v45, v119, 0xbf5db3d7, v35
	v_fmac_f32_e32 v35, 0x3f5db3d7, v119
	v_add_f32_e32 v46, v51, v50
	v_add_f32_e32 v47, v61, v89
	v_fmamk_f32 v50, v112, 0x3f5db3d7, v36
	v_fmamk_f32 v51, v113, 0xbf5db3d7, v37
	v_fmac_f32_e32 v36, 0xbf5db3d7, v112
	v_fmac_f32_e32 v37, 0x3f5db3d7, v113
	ds_write2_b64 v94, v[38:39], v[42:43] offset1:176
	ds_write2_b64 v56, v[32:33], v[40:41] offset0:32 offset1:208
	ds_write2_b64 v114, v[44:45], v[34:35] offset0:64 offset1:240
	;; [unrolled: 1-line block ×3, first 2 shown]
	ds_write_b64 v111, v[36:37] offset:11264
	v_add_co_u32 v32, s2, 0x1000, v58
	s_waitcnt lgkmcnt(0)
	s_barrier
	buffer_gl0_inv
	global_load_dwordx4 v[40:43], v[52:53], off offset:96
	v_add_co_ci_u32_e64 v33, s2, 0, v88, s2
	s_clause 0x1
	global_load_dwordx4 v[36:39], v[54:55], off offset:96
	global_load_dwordx4 v[32:35], v[32:33], off offset:96
	ds_read2_b64 v[44:47], v56 offset0:32 offset1:208
	ds_read2_b64 v[50:53], v57 offset0:32 offset1:208
	;; [unrolled: 1-line block ×3, first 2 shown]
	ds_read_b64 v[112:113], v94 offset:11264
	ds_read2_b64 v[58:61], v94 offset1:176
	v_add_co_u32 v88, s2, 0x3000, v48
	v_add_co_ci_u32_e64 v89, s2, 0, v49, s2
	s_waitcnt vmcnt(2) lgkmcnt(4)
	v_mul_f32_e32 v115, v47, v41
	v_mul_f32_e32 v116, v46, v41
	s_waitcnt lgkmcnt(3)
	v_mul_f32_e32 v117, v51, v43
	v_mul_f32_e32 v118, v50, v43
	s_waitcnt vmcnt(1) lgkmcnt(2)
	v_mul_f32_e32 v119, v55, v37
	v_mul_f32_e32 v120, v54, v37
	;; [unrolled: 1-line block ×4, first 2 shown]
	s_waitcnt vmcnt(0)
	v_mul_f32_e32 v123, v57, v33
	v_mul_f32_e32 v124, v56, v33
	s_waitcnt lgkmcnt(1)
	v_mul_f32_e32 v125, v113, v35
	v_mul_f32_e32 v126, v112, v35
	v_fma_f32 v46, v46, v40, -v115
	v_fmac_f32_e32 v116, v47, v40
	v_fma_f32 v47, v50, v42, -v117
	v_fmac_f32_e32 v118, v51, v42
	v_fma_f32 v50, v54, v36, -v119
	v_fmac_f32_e32 v120, v55, v36
	v_fma_f32 v52, v52, v38, -v121
	v_fmac_f32_e32 v122, v53, v38
	v_fma_f32 v51, v56, v32, -v123
	v_fmac_f32_e32 v124, v57, v32
	v_fma_f32 v54, v112, v34, -v125
	v_fmac_f32_e32 v126, v113, v34
	v_add_f32_e32 v55, v46, v47
	v_add_f32_e32 v112, v116, v118
	v_sub_f32_e32 v57, v116, v118
	s_waitcnt lgkmcnt(0)
	v_add_f32_e32 v56, v59, v116
	v_add_f32_e32 v116, v50, v52
	v_sub_f32_e32 v117, v120, v122
	v_add_f32_e32 v119, v61, v120
	v_add_f32_e32 v120, v120, v122
	;; [unrolled: 1-line block ×3, first 2 shown]
	v_sub_f32_e32 v113, v46, v47
	v_add_f32_e32 v115, v60, v50
	v_sub_f32_e32 v121, v50, v52
	v_add_f32_e32 v123, v44, v51
	v_add_f32_e32 v125, v51, v54
	v_sub_f32_e32 v127, v124, v126
	v_add_f32_e32 v128, v45, v124
	v_add_f32_e32 v124, v124, v126
	v_sub_f32_e32 v129, v51, v54
	v_fma_f32 v50, -0.5, v55, v58
	v_fma_f32 v51, -0.5, v112, v59
	;; [unrolled: 1-line block ×3, first 2 shown]
	v_fmac_f32_e32 v61, -0.5, v120
	v_add_f32_e32 v46, v53, v47
	v_add_f32_e32 v47, v56, v118
	v_fma_f32 v44, -0.5, v125, v44
	v_fmac_f32_e32 v45, -0.5, v124
	v_fmamk_f32 v56, v57, 0x3f5db3d7, v50
	v_fmac_f32_e32 v50, 0xbf5db3d7, v57
	v_fmamk_f32 v57, v113, 0xbf5db3d7, v51
	v_fmac_f32_e32 v51, 0x3f5db3d7, v113
	v_add_f32_e32 v52, v115, v52
	v_add_f32_e32 v53, v119, v122
	v_fmamk_f32 v58, v117, 0x3f5db3d7, v60
	v_fmac_f32_e32 v60, 0xbf5db3d7, v117
	v_fmamk_f32 v59, v121, 0xbf5db3d7, v61
	v_fmac_f32_e32 v61, 0x3f5db3d7, v121
	v_add_f32_e32 v54, v123, v54
	v_add_f32_e32 v55, v128, v126
	v_fmamk_f32 v112, v127, 0x3f5db3d7, v44
	v_fmac_f32_e32 v44, 0xbf5db3d7, v127
	v_fmamk_f32 v113, v129, 0xbf5db3d7, v45
	v_fmac_f32_e32 v45, 0x3f5db3d7, v129
	ds_write_b64 v94, v[56:57] offset:4224
	ds_write_b64 v94, v[50:51] offset:8448
	ds_write2_b64 v94, v[46:47], v[52:53] offset1:176
	ds_write_b64 v94, v[60:61] offset:9856
	ds_write_b64 v94, v[54:55] offset:2816
	ds_write2_b64 v114, v[58:59], v[112:113] offset0:64 offset1:240
	ds_write_b64 v94, v[44:45] offset:11264
	s_waitcnt lgkmcnt(0)
	s_barrier
	buffer_gl0_inv
	global_load_dwordx2 v[53:54], v[88:89], off offset:384
	v_add_co_u32 v50, s2, 0x3800, v48
	v_add_co_ci_u32_e64 v51, s2, 0, v49, s2
	v_add_co_u32 v55, s2, 0x4800, v48
	v_add_co_ci_u32_e64 v56, s2, 0, v49, s2
	;; [unrolled: 2-line block ×3, first 2 shown]
	s_clause 0x3
	global_load_dwordx2 v[60:61], v[55:56], off offset:576
	global_load_dwordx2 v[120:121], v[55:56], off offset:1984
	;; [unrolled: 1-line block ×4, first 2 shown]
	v_add_co_u32 v50, s2, 0x5000, v48
	v_add_co_ci_u32_e64 v51, s2, 0, v49, s2
	v_add_co_u32 v55, s2, 0x4000, v48
	v_add_co_ci_u32_e64 v56, s2, 0, v49, s2
	v_add_co_u32 v48, s2, 0x5800, v48
	v_add_co_ci_u32_e64 v49, s2, 0, v49, s2
	s_clause 0x2
	global_load_dwordx2 v[126:127], v[50:51], off offset:1696
	global_load_dwordx2 v[128:129], v[55:56], off offset:864
	;; [unrolled: 1-line block ×3, first 2 shown]
	ds_read2_b64 v[49:52], v94 offset1:176
	v_add_nc_u32_e32 v55, 0x1800, v94
	s_waitcnt vmcnt(7) lgkmcnt(0)
	v_mul_f32_e32 v48, v50, v54
	v_mul_f32_e32 v57, v49, v54
	v_add_nc_u32_e32 v54, 0x2400, v94
	v_fma_f32 v56, v49, v53, -v48
	v_fmac_f32_e32 v57, v50, v53
	v_add_nc_u32_e32 v50, 0xc00, v94
	v_add_nc_u32_e32 v53, 0x500, v94
	ds_write_b64 v94, v[56:57]
	ds_read2_b64 v[56:59], v50 offset0:12 offset1:188
	ds_read2_b64 v[112:115], v55 offset0:24 offset1:200
	ds_read2_b64 v[116:119], v54 offset0:36 offset1:212
	s_waitcnt vmcnt(3)
	v_mul_f32_e32 v48, v52, v125
	v_mul_f32_e32 v49, v51, v125
	v_fma_f32 v48, v51, v124, -v48
	v_fmac_f32_e32 v49, v52, v124
	s_waitcnt lgkmcnt(2)
	v_mul_f32_e32 v51, v57, v123
	v_mul_f32_e32 v52, v56, v123
	s_waitcnt lgkmcnt(1)
	v_mul_f32_e32 v124, v113, v61
	v_mul_f32_e32 v123, v112, v61
	s_waitcnt vmcnt(1)
	v_mul_f32_e32 v135, v59, v129
	v_mul_f32_e32 v125, v58, v129
	s_waitcnt lgkmcnt(0)
	v_mul_f32_e32 v134, v117, v127
	v_mul_f32_e32 v61, v116, v127
	;; [unrolled: 1-line block ×4, first 2 shown]
	s_waitcnt vmcnt(0)
	v_mul_f32_e32 v136, v119, v131
	v_mul_f32_e32 v121, v118, v131
	v_fma_f32 v51, v56, v122, -v51
	v_fmac_f32_e32 v52, v57, v122
	v_fma_f32 v122, v112, v60, -v124
	v_fmac_f32_e32 v123, v113, v60
	;; [unrolled: 2-line block ×6, first 2 shown]
	ds_write2_b64 v53, v[48:49], v[51:52] offset0:16 offset1:236
	ds_write2_b64 v132, v[124:125], v[122:123] offset0:28 offset1:248
	;; [unrolled: 1-line block ×3, first 2 shown]
	ds_write_b64 v94, v[120:121] offset:10912
	s_and_saveexec_b32 s3, vcc_lo
	s_cbranch_execz .LBB0_21
; %bb.20:
	v_add_co_u32 v48, s2, 0x800, v46
	v_add_co_ci_u32_e64 v49, s2, 0, v47, s2
	v_add_co_u32 v51, s2, 0x1000, v46
	v_add_co_ci_u32_e64 v52, s2, 0, v47, s2
	;; [unrolled: 2-line block ×3, first 2 shown]
	v_add_co_u32 v46, s2, 0x3000, v46
	global_load_dwordx2 v[48:49], v[48:49], off offset:768
	v_add_co_ci_u32_e64 v47, s2, 0, v47, s2
	s_clause 0x2
	global_load_dwordx2 v[51:52], v[51:52], off offset:1888
	global_load_dwordx2 v[56:57], v[56:57], off offset:960
	;; [unrolled: 1-line block ×3, first 2 shown]
	ds_read_b64 v[58:59], v94 offset:2816
	ds_read_b64 v[60:61], v94 offset:5984
	;; [unrolled: 1-line block ×4, first 2 shown]
	s_waitcnt vmcnt(3) lgkmcnt(3)
	v_mul_f32_e32 v116, v59, v49
	v_mul_f32_e32 v53, v58, v49
	s_waitcnt vmcnt(2) lgkmcnt(2)
	v_mul_f32_e32 v118, v61, v52
	v_mul_f32_e32 v49, v60, v52
	;; [unrolled: 3-line block ×4, first 2 shown]
	v_fma_f32 v52, v58, v48, -v116
	v_fmac_f32_e32 v53, v59, v48
	v_fma_f32 v48, v60, v51, -v118
	v_fmac_f32_e32 v49, v61, v51
	;; [unrolled: 2-line block ×4, first 2 shown]
	ds_write_b64 v94, v[52:53] offset:2816
	ds_write_b64 v94, v[48:49] offset:5984
	;; [unrolled: 1-line block ×4, first 2 shown]
.LBB0_21:
	s_or_b32 exec_lo, exec_lo, s3
	s_waitcnt lgkmcnt(0)
	s_barrier
	buffer_gl0_inv
	ds_read2_b64 v[46:49], v94 offset1:176
	ds_read2_b64 v[50:53], v50 offset0:12 offset1:188
	ds_read2_b64 v[58:61], v55 offset0:24 offset1:200
	;; [unrolled: 1-line block ×3, first 2 shown]
	s_and_saveexec_b32 s2, vcc_lo
	s_cbranch_execz .LBB0_23
; %bb.22:
	ds_read_b64 v[44:45], v94 offset:2816
	ds_read_b64 v[4:5], v94 offset:5984
	;; [unrolled: 1-line block ×4, first 2 shown]
.LBB0_23:
	s_or_b32 exec_lo, exec_lo, s2
	s_waitcnt lgkmcnt(1)
	v_sub_f32_e32 v112, v46, v58
	s_waitcnt lgkmcnt(0)
	v_sub_f32_e32 v58, v50, v54
	v_sub_f32_e32 v59, v47, v59
	;; [unrolled: 1-line block ×4, first 2 shown]
	v_fma_f32 v46, v46, 2.0, -v112
	v_fma_f32 v50, v50, 2.0, -v58
	v_sub_f32_e32 v115, v49, v61
	v_sub_f32_e32 v61, v52, v56
	;; [unrolled: 1-line block ×3, first 2 shown]
	v_fma_f32 v47, v47, 2.0, -v59
	v_sub_f32_e32 v54, v46, v50
	v_fma_f32 v51, v51, 2.0, -v113
	v_fma_f32 v116, v48, 2.0, -v114
	v_sub_f32_e32 v57, v59, v58
	v_fma_f32 v53, v53, 2.0, -v60
	v_fma_f32 v48, v46, 2.0, -v54
	;; [unrolled: 1-line block ×4, first 2 shown]
	v_sub_f32_e32 v55, v47, v51
	v_add_f32_e32 v56, v112, v113
	v_fma_f32 v51, v59, 2.0, -v57
	v_sub_f32_e32 v58, v116, v46
	v_sub_f32_e32 v59, v52, v53
	;; [unrolled: 1-line block ×6, first 2 shown]
	v_fma_f32 v50, v112, 2.0, -v56
	v_fma_f32 v112, v116, 2.0, -v58
	;; [unrolled: 1-line block ×7, first 2 shown]
	v_add_f32_e32 v46, v7, v53
	v_sub_f32_e32 v47, v92, v6
	v_sub_f32_e32 v44, v93, v4
	;; [unrolled: 1-line block ×3, first 2 shown]
	v_add_f32_e32 v60, v114, v60
	v_sub_f32_e32 v61, v115, v61
	v_fma_f32 v6, v53, 2.0, -v46
	v_fma_f32 v4, v93, 2.0, -v44
	;; [unrolled: 1-line block ×7, first 2 shown]
	s_barrier
	buffer_gl0_inv
	ds_write_b128 v101, v[48:51]
	ds_write_b128 v101, v[54:57] offset:16
	ds_write_b128 v102, v[112:115]
	ds_write_b128 v102, v[58:61] offset:16
	s_and_saveexec_b32 s2, vcc_lo
	s_cbranch_execz .LBB0_25
; %bb.24:
	ds_write_b128 v100, v[4:7]
	ds_write_b128 v100, v[44:47] offset:16
.LBB0_25:
	s_or_b32 exec_lo, exec_lo, s2
	v_add_nc_u32_e32 v46, 0x1800, v94
	v_add_nc_u32_e32 v47, 0xa00, v94
	;; [unrolled: 1-line block ×3, first 2 shown]
	s_waitcnt lgkmcnt(0)
	s_barrier
	buffer_gl0_inv
	ds_read2_b64 v[50:53], v94 offset1:176
	ds_read2_b64 v[58:61], v46 offset0:24 offset1:200
	ds_read2_b64 v[46:49], v47 offset0:32 offset1:208
	;; [unrolled: 1-line block ×3, first 2 shown]
	s_and_saveexec_b32 s2, s0
	s_cbranch_execz .LBB0_27
; %bb.26:
	ds_read_b64 v[4:5], v94 offset:5632
	ds_read_b64 v[6:7], v94 offset:11968
.LBB0_27:
	s_or_b32 exec_lo, exec_lo, s2
	s_waitcnt lgkmcnt(2)
	v_mul_f32_e32 v100, v63, v61
	v_mul_f32_e32 v92, v63, v59
	v_mul_f32_e32 v93, v63, v58
	v_mul_f32_e32 v101, v63, v60
	s_waitcnt lgkmcnt(0)
	v_mul_f32_e32 v102, v63, v55
	v_fmac_f32_e32 v100, v62, v60
	v_mul_f32_e32 v60, v63, v54
	v_fmac_f32_e32 v92, v62, v58
	v_fma_f32 v58, v62, v59, -v93
	v_fma_f32 v59, v62, v61, -v101
	v_fmac_f32_e32 v102, v62, v54
	v_mul_f32_e32 v93, v63, v57
	v_mul_f32_e32 v54, v63, v56
	;; [unrolled: 1-line block ×3, first 2 shown]
	v_fma_f32 v61, v62, v55, -v60
	v_mul_f32_e32 v55, v63, v6
	v_fmac_f32_e32 v93, v62, v56
	v_fma_f32 v56, v62, v57, -v54
	v_fmac_f32_e32 v101, v62, v6
	v_sub_f32_e32 v6, v50, v92
	v_fma_f32 v57, v62, v7, -v55
	v_sub_f32_e32 v7, v51, v58
	v_sub_f32_e32 v63, v49, v56
	;; [unrolled: 1-line block ×9, first 2 shown]
	v_fma_f32 v50, v50, 2.0, -v6
	v_fma_f32 v51, v51, 2.0, -v7
	;; [unrolled: 1-line block ×10, first 2 shown]
	s_barrier
	buffer_gl0_inv
	ds_write2_b64 v106, v[50:51], v[6:7] offset1:4
	ds_write2_b64 v105, v[52:53], v[54:55] offset1:4
	;; [unrolled: 1-line block ×4, first 2 shown]
	s_and_saveexec_b32 s2, s0
	s_cbranch_execz .LBB0_29
; %bb.28:
	v_and_or_b32 v4, 0x7f8, v98, v64
	v_lshlrev_b32_e32 v4, 3, v4
	ds_write2_b64 v4, v[58:59], v[56:57] offset1:4
.LBB0_29:
	s_or_b32 exec_lo, exec_lo, s2
	v_add_nc_u32_e32 v4, 0x1800, v94
	v_add_nc_u32_e32 v5, 0xa00, v94
	;; [unrolled: 1-line block ×3, first 2 shown]
	s_waitcnt lgkmcnt(0)
	s_barrier
	buffer_gl0_inv
	ds_read2_b64 v[48:51], v94 offset1:176
	ds_read2_b64 v[52:55], v4 offset0:24 offset1:200
	ds_read2_b64 v[61:64], v5 offset0:32 offset1:208
	;; [unrolled: 1-line block ×3, first 2 shown]
	s_and_saveexec_b32 s2, s0
	s_cbranch_execz .LBB0_31
; %bb.30:
	ds_read_b64 v[58:59], v94 offset:5632
	ds_read_b64 v[56:57], v94 offset:11968
.LBB0_31:
	s_or_b32 exec_lo, exec_lo, s2
	s_waitcnt lgkmcnt(2)
	v_mul_f32_e32 v46, v91, v53
	v_mul_f32_e32 v47, v91, v52
	;; [unrolled: 1-line block ×3, first 2 shown]
	s_waitcnt lgkmcnt(0)
	v_mul_f32_e32 v93, v91, v5
	v_mul_f32_e32 v60, v91, v55
	v_fmac_f32_e32 v46, v90, v52
	v_fma_f32 v47, v90, v53, -v47
	v_fma_f32 v52, v90, v55, -v92
	v_mul_f32_e32 v53, v91, v4
	v_mul_f32_e32 v92, v91, v7
	v_fmac_f32_e32 v93, v90, v4
	v_mul_f32_e32 v4, v91, v6
	v_mul_f32_e32 v100, v91, v57
	v_fma_f32 v53, v90, v5, -v53
	v_mul_f32_e32 v5, v91, v56
	v_fmac_f32_e32 v92, v90, v6
	v_sub_f32_e32 v6, v48, v46
	v_fmac_f32_e32 v60, v90, v54
	v_fma_f32 v91, v90, v7, -v4
	v_fmac_f32_e32 v100, v90, v56
	v_fma_f32 v90, v90, v57, -v5
	v_sub_f32_e32 v7, v49, v47
	v_fma_f32 v4, v48, 2.0, -v6
	v_sub_f32_e32 v48, v61, v93
	v_sub_f32_e32 v56, v50, v60
	;; [unrolled: 1-line block ×3, first 2 shown]
	v_fma_f32 v5, v49, 2.0, -v7
	v_sub_f32_e32 v49, v62, v53
	v_fma_f32 v46, v61, 2.0, -v48
	v_sub_f32_e32 v52, v63, v92
	v_sub_f32_e32 v53, v64, v91
	;; [unrolled: 1-line block ×4, first 2 shown]
	v_fma_f32 v54, v50, 2.0, -v56
	v_fma_f32 v55, v51, 2.0, -v57
	;; [unrolled: 1-line block ×7, first 2 shown]
	s_barrier
	buffer_gl0_inv
	ds_write2_b64 v110, v[4:5], v[6:7] offset1:8
	ds_write2_b64 v109, v[54:55], v[56:57] offset1:8
	;; [unrolled: 1-line block ×4, first 2 shown]
	s_and_saveexec_b32 s2, s0
	s_cbranch_execz .LBB0_33
; %bb.32:
	v_and_or_b32 v62, 0x7f0, v98, v99
	v_lshlrev_b32_e32 v62, 3, v62
	ds_write2_b64 v62, v[58:59], v[60:61] offset1:8
.LBB0_33:
	s_or_b32 exec_lo, exec_lo, s2
	s_waitcnt lgkmcnt(0)
	s_barrier
	buffer_gl0_inv
	s_and_saveexec_b32 s0, s1
	s_cbranch_execz .LBB0_35
; %bb.34:
	v_add_nc_u32_e32 v44, 0x800, v94
	v_add_nc_u32_e32 v45, 0x1000, v94
	;; [unrolled: 1-line block ×4, first 2 shown]
	ds_read2_b64 v[4:7], v94 offset1:144
	ds_read2_b64 v[54:57], v44 offset0:32 offset1:176
	ds_read2_b64 v[46:49], v45 offset0:64 offset1:208
	;; [unrolled: 1-line block ×3, first 2 shown]
	ds_read2_b64 v[58:61], v58 offset1:144
	ds_read_b64 v[44:45], v94 offset:11520
.LBB0_35:
	s_or_b32 exec_lo, exec_lo, s0
	s_waitcnt lgkmcnt(0)
	s_barrier
	buffer_gl0_inv
	s_and_saveexec_b32 s0, s1
	s_cbranch_execz .LBB0_37
; %bb.36:
	v_mul_f32_e32 v64, v17, v7
	v_mul_f32_e32 v62, v23, v45
	;; [unrolled: 1-line block ×5, first 2 shown]
	v_fmac_f32_e32 v64, v16, v6
	v_fmac_f32_e32 v62, v22, v44
	v_mul_f32_e32 v17, v17, v6
	v_mul_f32_e32 v21, v21, v60
	;; [unrolled: 1-line block ×3, first 2 shown]
	v_fmac_f32_e32 v90, v18, v54
	v_fmac_f32_e32 v63, v20, v60
	v_sub_f32_e32 v44, v64, v62
	v_fma_f32 v6, v22, v45, -v23
	v_fma_f32 v22, v16, v7, -v17
	;; [unrolled: 1-line block ×4, first 2 shown]
	v_mul_f32_e32 v55, v9, v57
	v_mul_f32_e32 v17, v15, v59
	v_sub_f32_e32 v7, v90, v63
	v_mul_f32_e32 v21, 0xbf0a6770, v44
	v_add_f32_e32 v23, v6, v22
	v_mul_f32_e32 v15, v15, v58
	v_fmac_f32_e32 v55, v8, v56
	v_fmac_f32_e32 v17, v14, v58
	v_mul_f32_e32 v9, v9, v56
	v_mul_f32_e32 v56, v11, v47
	;; [unrolled: 1-line block ×4, first 2 shown]
	v_add_f32_e32 v54, v16, v20
	v_fmamk_f32 v18, v23, 0x3f575c64, v21
	v_sub_f32_e32 v60, v55, v17
	v_fma_f32 v15, v14, v59, -v15
	v_fma_f32 v57, v8, v57, -v9
	v_fmac_f32_e32 v56, v10, v46
	v_fmac_f32_e32 v58, v12, v52
	v_mul_f32_e32 v8, v13, v52
	v_mul_f32_e32 v9, v11, v46
	;; [unrolled: 1-line block ×4, first 2 shown]
	v_sub_f32_e32 v11, v22, v6
	v_fmamk_f32 v19, v54, 0x3ed4b147, v45
	v_add_f32_e32 v18, v5, v18
	v_mul_f32_e32 v46, 0xbf7d64f0, v60
	v_add_f32_e32 v52, v15, v57
	v_sub_f32_e32 v59, v56, v58
	v_fma_f32 v53, v12, v53, -v8
	v_fma_f32 v47, v10, v47, -v9
	v_fmac_f32_e32 v61, v0, v48
	v_fmac_f32_e32 v91, v2, v50
	v_add_f32_e32 v98, v62, v64
	v_mul_f32_e32 v99, 0xbf0a6770, v11
	v_sub_f32_e32 v13, v20, v16
	v_mul_f32_e32 v3, v3, v50
	v_mul_f32_e32 v1, v1, v48
	v_add_f32_e32 v18, v19, v18
	v_fmamk_f32 v8, v52, 0xbe11bafb, v46
	v_mul_f32_e32 v92, 0xbf4178ce, v59
	v_add_f32_e32 v93, v53, v47
	v_sub_f32_e32 v100, v61, v91
	v_fma_f32 v10, 0x3f575c64, v98, -v99
	v_add_f32_e32 v48, v63, v90
	v_mul_f32_e32 v50, 0xbf68dda4, v13
	v_fma_f32 v51, v2, v51, -v3
	v_sub_f32_e32 v14, v57, v15
	v_fma_f32 v49, v0, v49, -v1
	v_add_f32_e32 v8, v8, v18
	v_fmamk_f32 v9, v93, 0xbf27a4f4, v92
	v_add_f32_e32 v0, v4, v10
	v_fma_f32 v1, 0x3ed4b147, v48, -v50
	v_add_f32_e32 v101, v17, v55
	v_mul_f32_e32 v102, 0xbf7d64f0, v14
	v_mul_f32_e32 v103, 0xbe903f40, v100
	v_sub_f32_e32 v18, v47, v53
	v_add_f32_e32 v104, v51, v49
	v_mul_f32_e32 v19, 0xbf68dda4, v44
	v_add_f32_e32 v0, v1, v0
	v_fma_f32 v1, 0xbe11bafb, v101, -v102
	v_add_f32_e32 v105, v58, v56
	v_mul_f32_e32 v106, 0xbf4178ce, v18
	v_add_f32_e32 v2, v9, v8
	v_fmamk_f32 v3, v104, 0xbf75a155, v103
	v_fmamk_f32 v9, v23, 0x3ed4b147, v19
	v_mul_f32_e32 v107, 0xbf4178ce, v7
	v_sub_f32_e32 v108, v49, v51
	v_add_f32_e32 v0, v1, v0
	v_fma_f32 v8, 0xbf27a4f4, v105, -v106
	v_add_f32_e32 v1, v3, v2
	v_add_f32_e32 v2, v5, v9
	v_fmamk_f32 v3, v54, 0xbf27a4f4, v107
	v_mul_f32_e32 v109, 0x3e903f40, v60
	v_add_f32_e32 v110, v91, v61
	v_mul_f32_e32 v112, 0xbe903f40, v108
	v_mul_f32_e32 v113, 0xbf68dda4, v11
	v_add_f32_e32 v0, v8, v0
	v_add_f32_e32 v2, v3, v2
	v_fmamk_f32 v3, v52, 0xbf75a155, v109
	v_mul_f32_e32 v114, 0x3f7d64f0, v59
	v_fma_f32 v8, 0xbf75a155, v110, -v112
	v_fma_f32 v9, 0x3ed4b147, v98, -v113
	v_mul_f32_e32 v115, 0xbf4178ce, v13
	v_add_f32_e32 v2, v3, v2
	v_fmamk_f32 v3, v93, 0xbe11bafb, v114
	v_add_f32_e32 v0, v8, v0
	v_add_f32_e32 v8, v4, v9
	v_fma_f32 v9, 0xbf27a4f4, v48, -v115
	v_mul_f32_e32 v116, 0x3e903f40, v14
	v_mul_f32_e32 v117, 0x3f0a6770, v100
	;; [unrolled: 1-line block ×3, first 2 shown]
	v_add_f32_e32 v2, v3, v2
	v_add_f32_e32 v3, v9, v8
	v_fma_f32 v8, 0xbf75a155, v101, -v116
	v_fmamk_f32 v9, v104, 0x3f575c64, v117
	v_fmamk_f32 v10, v23, 0xbe11bafb, v118
	v_mul_f32_e32 v120, 0x3e903f40, v7
	v_mul_f32_e32 v119, 0x3f7d64f0, v18
	v_add_f32_e32 v8, v8, v3
	v_add_f32_e32 v3, v9, v2
	;; [unrolled: 1-line block ×3, first 2 shown]
	v_fmamk_f32 v9, v54, 0xbf75a155, v120
	v_mul_f32_e32 v121, 0x3f68dda4, v60
	v_fma_f32 v12, 0xbe11bafb, v105, -v119
	v_mul_f32_e32 v122, 0x3f0a6770, v108
	v_mul_f32_e32 v123, 0xbf7d64f0, v11
	v_add_f32_e32 v2, v9, v2
	v_fmamk_f32 v9, v52, 0x3ed4b147, v121
	v_mul_f32_e32 v124, 0xbf0a6770, v59
	v_add_f32_e32 v8, v12, v8
	v_fma_f32 v10, 0x3f575c64, v110, -v122
	v_fma_f32 v12, 0xbe11bafb, v98, -v123
	v_mul_f32_e32 v125, 0x3e903f40, v13
	v_add_f32_e32 v9, v9, v2
	v_fmamk_f32 v126, v93, 0x3f575c64, v124
	v_add_f32_e32 v2, v10, v8
	v_add_f32_e32 v8, v4, v12
	v_fma_f32 v10, 0xbf75a155, v48, -v125
	v_mul_f32_e32 v127, 0x3f68dda4, v14
	v_add_f32_e32 v9, v126, v9
	v_mul_f32_e32 v126, 0xbf4178ce, v100
	v_mul_f32_e32 v12, 0xbe903f40, v44
	v_add_f32_e32 v8, v10, v8
	v_fma_f32 v10, 0x3ed4b147, v101, -v127
	v_mul_f32_e32 v128, 0xbf0a6770, v18
	v_fmamk_f32 v129, v104, 0xbf27a4f4, v126
	v_fmamk_f32 v130, v23, 0xbf75a155, v12
	v_mul_f32_e32 v131, 0x3f0a6770, v7
	v_add_f32_e32 v10, v10, v8
	v_fma_f32 v132, 0x3f575c64, v105, -v128
	v_add_f32_e32 v8, v129, v9
	v_add_f32_e32 v9, v5, v130
	v_fmamk_f32 v129, v54, 0x3f575c64, v131
	v_mul_f32_e32 v130, 0xbf4178ce, v60
	v_mul_f32_e32 v134, 0xbe903f40, v11
	v_fma_f32 v12, 0xbf75a155, v23, -v12
	v_add_f32_e32 v132, v132, v10
	v_add_f32_e32 v9, v129, v9
	v_fmamk_f32 v10, v52, 0xbf27a4f4, v130
	v_mul_f32_e32 v129, 0x3f68dda4, v59
	v_fma_f32 v136, 0xbf75a155, v98, -v134
	v_mul_f32_e32 v137, 0x3f0a6770, v13
	v_add_f32_e32 v12, v5, v12
	v_fma_f32 v131, 0x3f575c64, v54, -v131
	v_fmac_f32_e32 v134, 0xbf75a155, v98
	v_add_f32_e32 v9, v10, v9
	v_fmamk_f32 v10, v93, 0x3ed4b147, v129
	v_mul_f32_e32 v138, 0xbf7d64f0, v100
	v_add_f32_e32 v136, v4, v136
	v_fma_f32 v139, 0x3f575c64, v48, -v137
	v_mul_f32_e32 v140, 0xbf4178ce, v14
	v_add_f32_e32 v12, v131, v12
	v_fma_f32 v130, 0xbf27a4f4, v52, -v130
	v_add_f32_e32 v134, v4, v134
	v_fmac_f32_e32 v137, 0x3f575c64, v48
	v_add_f32_e32 v9, v10, v9
	v_fmamk_f32 v10, v104, 0xbe11bafb, v138
	v_add_f32_e32 v136, v139, v136
	v_fma_f32 v139, 0xbf27a4f4, v101, -v140
	v_mul_f32_e32 v141, 0x3f68dda4, v18
	v_add_f32_e32 v12, v130, v12
	v_add_f32_e32 v130, v137, v134
	v_fmac_f32_e32 v140, 0xbf27a4f4, v101
	v_add_f32_e32 v10, v10, v9
	v_add_f32_e32 v9, v139, v136
	v_fma_f32 v131, 0x3ed4b147, v105, -v141
	v_mul_f32_e32 v136, 0xbf7d64f0, v108
	v_fma_f32 v129, 0x3ed4b147, v93, -v129
	v_add_f32_e32 v130, v140, v130
	v_fmac_f32_e32 v141, 0x3ed4b147, v105
	v_add_f32_e32 v9, v131, v9
	v_fma_f32 v131, 0xbe11bafb, v110, -v136
	v_add_f32_e32 v12, v129, v12
	v_fma_f32 v129, 0xbe11bafb, v104, -v138
	v_mul_f32_e32 v134, 0xbf27a4f4, v23
	v_add_f32_e32 v22, v22, v5
	v_add_f32_e32 v130, v141, v130
	v_mul_f32_e32 v141, 0xbf0a6770, v14
	v_fma_f32 v14, 0xbe11bafb, v23, -v118
	v_fma_f32 v19, 0x3ed4b147, v23, -v19
	;; [unrolled: 1-line block ×3, first 2 shown]
	v_add_f32_e32 v9, v131, v9
	v_add_f32_e32 v12, v129, v12
	v_fmamk_f32 v129, v44, 0x3f4178ce, v134
	v_mul_f32_e32 v131, 0xbe11bafb, v54
	v_fmac_f32_e32 v136, 0xbe11bafb, v110
	v_mul_f32_e32 v137, 0xbf4178ce, v11
	v_add_f32_e32 v20, v20, v22
	v_add_f32_e32 v23, v5, v23
	v_fma_f32 v22, 0x3ed4b147, v54, -v45
	v_add_f32_e32 v129, v5, v129
	v_fmamk_f32 v138, v7, 0xbf7d64f0, v131
	v_mul_f32_e32 v139, 0x3f575c64, v52
	v_add_f32_e32 v11, v136, v130
	v_fmamk_f32 v130, v98, 0xbf27a4f4, v137
	v_mul_f32_e32 v136, 0x3f7d64f0, v13
	v_add_f32_e32 v20, v57, v20
	v_add_f32_e32 v22, v22, v23
	;; [unrolled: 1-line block ×4, first 2 shown]
	v_fmamk_f32 v129, v60, 0x3f0a6770, v139
	v_add_f32_e32 v130, v4, v130
	v_fmamk_f32 v140, v48, 0xbe11bafb, v136
	v_add_f32_e32 v20, v47, v20
	v_fma_f32 v46, 0xbe11bafb, v52, -v46
	v_add_f32_e32 v23, v90, v23
	v_mul_f32_e32 v138, 0xbf75a155, v93
	v_add_f32_e32 v13, v129, v13
	v_add_f32_e32 v129, v140, v130
	v_fmamk_f32 v130, v101, 0x3f575c64, v141
	v_mul_f32_e32 v140, 0xbe903f40, v18
	v_add_f32_e32 v20, v49, v20
	v_add_f32_e32 v22, v46, v22
	v_fma_f32 v46, 0xbf27a4f4, v93, -v92
	v_add_f32_e32 v23, v55, v23
	v_mul_f32_e32 v133, 0xbf4178ce, v108
	v_fmamk_f32 v118, v59, 0x3e903f40, v138
	v_add_f32_e32 v14, v5, v14
	v_fma_f32 v18, 0xbf75a155, v54, -v120
	v_mul_f32_e32 v120, 0x3ed4b147, v104
	v_add_f32_e32 v129, v130, v129
	v_fmamk_f32 v130, v105, 0xbf75a155, v140
	v_mul_f32_e32 v108, 0x3f68dda4, v108
	v_add_f32_e32 v20, v51, v20
	v_add_f32_e32 v22, v46, v22
	v_fma_f32 v46, 0xbf75a155, v104, -v103
	v_add_f32_e32 v47, v56, v23
	v_add_f32_e32 v14, v18, v14
	v_fma_f32 v18, 0x3ed4b147, v52, -v121
	v_add_f32_e32 v13, v118, v13
	v_fmamk_f32 v118, v100, 0xbf68dda4, v120
	v_add_f32_e32 v121, v130, v129
	v_fmamk_f32 v129, v110, 0x3ed4b147, v108
	v_fmac_f32_e32 v123, 0xbe11bafb, v98
	v_add_f32_e32 v20, v53, v20
	v_fmac_f32_e32 v99, 0x3f575c64, v98
	v_add_f32_e32 v23, v46, v22
	v_add_f32_e32 v46, v61, v47
	v_add_f32_e32 v18, v18, v14
	v_fma_f32 v124, 0x3f575c64, v93, -v124
	v_add_f32_e32 v14, v118, v13
	v_add_f32_e32 v13, v129, v121
	;; [unrolled: 1-line block ×4, first 2 shown]
	v_fma_f32 v107, 0xbf27a4f4, v54, -v107
	v_fmac_f32_e32 v113, 0x3ed4b147, v98
	v_fmac_f32_e32 v134, 0xbf4178ce, v44
	v_add_f32_e32 v15, v15, v20
	v_fma_f32 v20, 0xbf27a4f4, v98, -v137
	v_add_f32_e32 v45, v4, v99
	v_fmac_f32_e32 v50, 0x3ed4b147, v48
	v_add_f32_e32 v44, v91, v46
	v_add_f32_e32 v18, v124, v18
	v_fma_f32 v118, 0xbf27a4f4, v104, -v126
	v_fmac_f32_e32 v125, 0xbf75a155, v48
	v_add_f32_e32 v107, v107, v123
	v_fma_f32 v109, 0xbf75a155, v52, -v109
	v_add_f32_e32 v113, v4, v113
	v_fmac_f32_e32 v115, 0xbf27a4f4, v48
	v_add_f32_e32 v5, v5, v134
	v_fmac_f32_e32 v131, 0x3f7d64f0, v7
	v_add_f32_e32 v7, v16, v15
	v_add_f32_e32 v4, v4, v20
	v_fma_f32 v15, 0xbe11bafb, v48, -v136
	v_add_f32_e32 v45, v50, v45
	v_fmac_f32_e32 v102, 0xbe11bafb, v101
	v_add_f32_e32 v16, v58, v44
	v_add_f32_e32 v19, v118, v18
	;; [unrolled: 1-line block ×3, first 2 shown]
	v_fmac_f32_e32 v127, 0x3ed4b147, v101
	v_add_f32_e32 v107, v109, v107
	v_fma_f32 v109, 0xbe11bafb, v93, -v114
	v_add_f32_e32 v113, v115, v113
	v_fmac_f32_e32 v116, 0xbf75a155, v101
	v_add_f32_e32 v20, v131, v5
	v_fmac_f32_e32 v139, 0xbf0a6770, v60
	v_add_f32_e32 v5, v6, v7
	v_add_f32_e32 v4, v15, v4
	v_fma_f32 v6, 0x3f575c64, v101, -v141
	v_add_f32_e32 v45, v102, v45
	v_fmac_f32_e32 v106, 0xbf27a4f4, v105
	v_add_f32_e32 v7, v17, v16
	v_mul_u32_u24_e32 v16, 0xb0, v97
	v_add_f32_e32 v18, v127, v18
	v_fmac_f32_e32 v128, 0x3f575c64, v105
	v_add_f32_e32 v107, v109, v107
	v_fma_f32 v109, 0x3f575c64, v104, -v117
	v_add_f32_e32 v113, v116, v113
	v_fmac_f32_e32 v119, 0xbe11bafb, v105
	v_add_f32_e32 v15, v139, v20
	v_fmac_f32_e32 v138, 0xbe903f40, v59
	v_add_f32_e32 v4, v6, v4
	v_fma_f32 v6, 0xbf75a155, v105, -v140
	v_add_f32_e32 v45, v106, v45
	v_fmac_f32_e32 v112, 0xbf75a155, v110
	v_add_f32_e32 v7, v63, v7
	v_or_b32_e32 v16, v16, v96
	v_fma_f32 v135, 0xbf27a4f4, v110, -v133
	v_add_f32_e32 v18, v128, v18
	v_fmac_f32_e32 v133, 0xbf27a4f4, v110
	v_add_f32_e32 v21, v109, v107
	v_add_f32_e32 v107, v119, v113
	v_fmac_f32_e32 v122, 0x3f575c64, v110
	v_add_f32_e32 v15, v138, v15
	v_fmac_f32_e32 v120, 0x3f68dda4, v100
	v_add_f32_e32 v6, v6, v4
	v_fma_f32 v17, 0x3ed4b147, v110, -v108
	v_add_f32_e32 v22, v112, v45
	v_add_f32_e32 v4, v62, v7
	v_lshlrev_b32_e32 v44, 3, v16
	v_add_f32_e32 v18, v133, v18
	v_add_f32_e32 v20, v122, v107
	;; [unrolled: 1-line block ×5, first 2 shown]
	ds_write2_b64 v44, v[4:5], v[22:23] offset1:16
	ds_write2_b64 v44, v[20:21], v[18:19] offset0:32 offset1:48
	ds_write2_b64 v44, v[13:14], v[11:12] offset0:64 offset1:80
	;; [unrolled: 1-line block ×4, first 2 shown]
	ds_write_b64 v44, v[0:1] offset:1280
.LBB0_37:
	s_or_b32 exec_lo, exec_lo, s0
	v_add_nc_u32_e32 v18, 0xa00, v94
	v_add_nc_u32_e32 v19, 0x2000, v94
	;; [unrolled: 1-line block ×3, first 2 shown]
	s_waitcnt lgkmcnt(0)
	s_barrier
	buffer_gl0_inv
	ds_read_b64 v[16:17], v94 offset:11264
	ds_read2_b64 v[0:3], v18 offset0:32 offset1:208
	ds_read2_b64 v[4:7], v19 offset0:32 offset1:208
	;; [unrolled: 1-line block ×3, first 2 shown]
	ds_read2_b64 v[12:15], v94 offset1:176
	s_waitcnt lgkmcnt(0)
	s_barrier
	buffer_gl0_inv
	s_mov_b32 s2, 0xa052bf5b
	s_mov_b32 s3, 0x3f44afd6
	s_mul_hi_u32 s1, s8, 0x18c
	v_mul_f32_e32 v23, v25, v3
	v_mul_f32_e32 v44, v27, v5
	;; [unrolled: 1-line block ×7, first 2 shown]
	v_fmac_f32_e32 v23, v24, v2
	v_fmac_f32_e32 v44, v26, v4
	v_fma_f32 v3, v24, v3, -v31
	v_fma_f32 v5, v26, v5, -v45
	v_mul_f32_e32 v46, v25, v9
	v_mul_f32_e32 v25, v25, v8
	;; [unrolled: 1-line block ×4, first 2 shown]
	v_fmac_f32_e32 v47, v26, v6
	v_add_f32_e32 v2, v23, v44
	v_add_f32_e32 v6, v3, v5
	v_mul_f32_e32 v29, v29, v10
	v_fmac_f32_e32 v21, v30, v16
	v_fmac_f32_e32 v46, v24, v8
	v_fma_f32 v9, v24, v9, -v25
	v_fma_f32 v16, v26, v7, -v27
	v_fmac_f32_e32 v48, v28, v10
	v_sub_f32_e32 v7, v3, v5
	v_fma_f32 v2, -0.5, v2, v12
	v_add_f32_e32 v8, v13, v3
	v_sub_f32_e32 v10, v23, v44
	v_fma_f32 v3, -0.5, v6, v13
	v_fma_f32 v17, v30, v17, -v22
	v_fmamk_f32 v6, v7, 0xbf5db3d7, v2
	v_fmac_f32_e32 v2, 0x3f5db3d7, v7
	v_add_f32_e32 v5, v8, v5
	v_add_f32_e32 v8, v46, v47
	v_fmamk_f32 v7, v10, 0x3f5db3d7, v3
	v_fmac_f32_e32 v3, 0xbf5db3d7, v10
	v_add_f32_e32 v10, v9, v16
	v_fma_f32 v22, v28, v11, -v29
	v_add_f32_e32 v4, v12, v23
	v_add_f32_e32 v11, v14, v46
	v_fma_f32 v14, -0.5, v8, v14
	v_sub_f32_e32 v12, v9, v16
	v_add_f32_e32 v9, v15, v9
	v_fmac_f32_e32 v15, -0.5, v10
	v_sub_f32_e32 v13, v46, v47
	v_add_f32_e32 v8, v11, v47
	v_fmamk_f32 v10, v12, 0xbf5db3d7, v14
	v_fmac_f32_e32 v14, 0x3f5db3d7, v12
	v_add_f32_e32 v12, v48, v21
	v_fmamk_f32 v11, v13, 0x3f5db3d7, v15
	v_fmac_f32_e32 v15, 0xbf5db3d7, v13
	v_add_f32_e32 v13, v22, v17
	v_add_f32_e32 v9, v9, v16
	;; [unrolled: 1-line block ×3, first 2 shown]
	v_fma_f32 v0, -0.5, v12, v0
	v_sub_f32_e32 v23, v22, v17
	v_add_f32_e32 v22, v1, v22
	v_fmac_f32_e32 v1, -0.5, v13
	v_sub_f32_e32 v24, v48, v21
	v_add_f32_e32 v4, v4, v44
	v_add_f32_e32 v12, v16, v21
	v_fmamk_f32 v16, v23, 0xbf5db3d7, v0
	v_add_f32_e32 v13, v22, v17
	v_fmamk_f32 v17, v24, 0x3f5db3d7, v1
	v_add_nc_u32_e32 v21, 0x2000, v111
	v_fmac_f32_e32 v0, 0x3f5db3d7, v23
	v_fmac_f32_e32 v1, 0xbf5db3d7, v24
	ds_write2_b64 v94, v[4:5], v[6:7] offset1:176
	ds_write2_b64 v18, v[2:3], v[8:9] offset0:32 offset1:208
	ds_write2_b64 v20, v[10:11], v[14:15] offset0:64 offset1:240
	;; [unrolled: 1-line block ×3, first 2 shown]
	ds_write_b64 v111, v[0:1] offset:11264
	s_waitcnt lgkmcnt(0)
	s_barrier
	buffer_gl0_inv
	ds_read2_b64 v[0:3], v18 offset0:32 offset1:208
	ds_read2_b64 v[4:7], v19 offset0:32 offset1:208
	ds_read2_b64 v[8:11], v20 offset0:64 offset1:240
	ds_read_b64 v[16:17], v94 offset:11264
	ds_read2_b64 v[12:15], v94 offset1:176
	s_waitcnt lgkmcnt(4)
	v_mul_f32_e32 v18, v41, v3
	s_waitcnt lgkmcnt(3)
	v_mul_f32_e32 v21, v43, v5
	v_mul_f32_e32 v19, v41, v2
	;; [unrolled: 1-line block ×3, first 2 shown]
	s_waitcnt lgkmcnt(2)
	v_mul_f32_e32 v23, v33, v11
	v_fmac_f32_e32 v18, v40, v2
	v_mul_f32_e32 v2, v43, v4
	v_fmac_f32_e32 v21, v42, v4
	v_mul_f32_e32 v4, v37, v8
	v_fma_f32 v3, v40, v3, -v19
	v_mul_f32_e32 v19, v37, v9
	v_fma_f32 v5, v42, v5, -v2
	;; [unrolled: 2-line block ×3, first 2 shown]
	v_mul_f32_e32 v4, v33, v10
	v_fmac_f32_e32 v19, v36, v8
	v_fmac_f32_e32 v22, v38, v6
	v_fma_f32 v24, v38, v7, -v2
	s_waitcnt lgkmcnt(1)
	v_mul_f32_e32 v2, v35, v16
	v_fma_f32 v26, v32, v11, -v4
	v_add_f32_e32 v4, v18, v21
	v_add_f32_e32 v7, v3, v5
	v_mul_f32_e32 v25, v35, v17
	v_fmac_f32_e32 v23, v32, v10
	s_waitcnt lgkmcnt(0)
	v_add_f32_e32 v6, v12, v18
	v_fma_f32 v17, v34, v17, -v2
	v_fma_f32 v2, -0.5, v4, v12
	v_sub_f32_e32 v8, v3, v5
	v_add_f32_e32 v10, v13, v3
	v_fma_f32 v3, -0.5, v7, v13
	v_sub_f32_e32 v11, v18, v21
	v_add_f32_e32 v4, v6, v21
	v_fmamk_f32 v6, v8, 0xbf5db3d7, v2
	v_fmac_f32_e32 v2, 0x3f5db3d7, v8
	v_add_f32_e32 v8, v19, v22
	v_fmamk_f32 v7, v11, 0x3f5db3d7, v3
	v_fmac_f32_e32 v3, 0xbf5db3d7, v11
	v_add_f32_e32 v11, v9, v24
	v_fmac_f32_e32 v25, v34, v16
	v_add_f32_e32 v5, v10, v5
	v_add_f32_e32 v10, v14, v19
	v_fma_f32 v14, -0.5, v8, v14
	v_sub_f32_e32 v12, v9, v24
	v_add_f32_e32 v9, v15, v9
	v_fmac_f32_e32 v15, -0.5, v11
	v_sub_f32_e32 v13, v19, v22
	v_add_f32_e32 v8, v10, v22
	v_fmamk_f32 v10, v12, 0xbf5db3d7, v14
	v_fmac_f32_e32 v14, 0x3f5db3d7, v12
	v_add_f32_e32 v12, v23, v25
	v_fmamk_f32 v11, v13, 0x3f5db3d7, v15
	v_fmac_f32_e32 v15, 0xbf5db3d7, v13
	v_add_f32_e32 v13, v26, v17
	v_add_f32_e32 v16, v0, v23
	v_fma_f32 v0, -0.5, v12, v0
	v_sub_f32_e32 v18, v26, v17
	v_add_f32_e32 v19, v1, v26
	v_fmac_f32_e32 v1, -0.5, v13
	v_sub_f32_e32 v21, v23, v25
	v_add_f32_e32 v9, v9, v24
	v_add_f32_e32 v12, v16, v25
	v_fmamk_f32 v16, v18, 0xbf5db3d7, v0
	v_fmac_f32_e32 v0, 0x3f5db3d7, v18
	v_add_f32_e32 v13, v19, v17
	v_fmamk_f32 v17, v21, 0x3f5db3d7, v1
	v_fmac_f32_e32 v1, 0xbf5db3d7, v21
	ds_write_b64 v94, v[6:7] offset:4224
	ds_write_b64 v94, v[2:3] offset:8448
	ds_write2_b64 v94, v[4:5], v[8:9] offset1:176
	ds_write_b64 v94, v[14:15] offset:9856
	ds_write_b64 v94, v[12:13] offset:2816
	ds_write2_b64 v20, v[10:11], v[16:17] offset0:64 offset1:240
	ds_write_b64 v94, v[0:1] offset:11264
	s_waitcnt lgkmcnt(0)
	s_barrier
	buffer_gl0_inv
	ds_read2_b64 v[0:3], v94 offset1:176
	v_add_nc_u32_e32 v6, 0xc00, v94
	v_add_nc_u32_e32 v8, 0x1800, v94
	ds_read2_b64 v[8:11], v8 offset0:24 offset1:200
	s_waitcnt lgkmcnt(1)
	v_mul_f32_e32 v4, v83, v1
	v_mul_f32_e32 v5, v83, v0
	v_fmac_f32_e32 v4, v82, v0
	v_fma_f32 v5, v82, v1, -v5
	v_mad_u64_u32 v[0:1], null, s10, v71, 0
	s_waitcnt lgkmcnt(0)
	v_mul_f32_e32 v29, v77, v10
	v_cvt_f64_f32_e32 v[12:13], v4
	v_cvt_f64_f32_e32 v[14:15], v5
	ds_read2_b64 v[4:7], v6 offset0:12 offset1:188
	v_fma_f32 v29, v76, v11, -v29
	v_mad_u64_u32 v[16:17], null, s11, v71, v[1:2]
	v_mad_u64_u32 v[17:18], null, s8, v95, 0
	v_mov_b32_e32 v1, v16
	v_lshlrev_b64 v[0:1], 3, v[0:1]
	v_mul_f64 v[19:20], v[12:13], s[2:3]
	s_waitcnt lgkmcnt(0)
	v_mul_f32_e32 v13, v85, v4
	v_mul_f32_e32 v16, v85, v5
	v_mul_f64 v[21:22], v[14:15], s[2:3]
	v_mov_b32_e32 v12, v18
	v_mul_f32_e32 v14, v87, v9
	v_fma_f32 v13, v84, v5, -v13
	v_fmac_f32_e32 v16, v84, v4
	v_mul_f32_e32 v15, v87, v8
	v_add_co_u32 v0, s0, s6, v0
	v_mad_u64_u32 v[4:5], null, s9, v95, v[12:13]
	v_fmac_f32_e32 v14, v86, v8
	v_add_nc_u32_e32 v12, 0x2400, v94
	v_cvt_f64_f32_e32 v[23:24], v13
	v_fma_f32 v5, v86, v9, -v15
	v_cvt_f64_f32_e32 v[8:9], v16
	v_cvt_f64_f32_e32 v[25:26], v14
	ds_read2_b64 v[12:15], v12 offset0:36 offset1:212
	v_mov_b32_e32 v18, v4
	v_cvt_f64_f32_e32 v[27:28], v5
	v_add_co_ci_u32_e64 v1, s0, s7, v1, s0
	v_cvt_f32_f64_e32 v4, v[19:20]
	v_lshlrev_b64 v[16:17], 3, v[17:18]
	v_cvt_f32_f64_e32 v5, v[21:22]
	v_add_co_u32 v0, s0, v0, v16
	v_add_co_ci_u32_e64 v1, s0, v1, v17, s0
	s_mul_i32 s0, s9, 0x18c
	v_mul_f64 v[16:17], v[23:24], s[2:3]
	v_mul_f32_e32 v24, v73, v3
	s_waitcnt lgkmcnt(0)
	v_mul_f32_e32 v22, v81, v13
	v_mul_f32_e32 v23, v81, v12
	v_mul_f64 v[18:19], v[25:26], s[2:3]
	v_mul_f32_e32 v25, v73, v2
	v_mul_f32_e32 v26, v75, v7
	v_fmac_f32_e32 v22, v80, v12
	v_fma_f32 v12, v80, v13, -v23
	v_fmac_f32_e32 v24, v72, v2
	v_fma_f32 v25, v72, v3, -v25
	v_fmac_f32_e32 v26, v74, v6
	v_cvt_f64_f32_e32 v[2:3], v22
	v_cvt_f64_f32_e32 v[12:13], v12
	v_mul_f32_e32 v6, v75, v6
	v_mul_f64 v[20:21], v[27:28], s[2:3]
	v_mul_f32_e32 v28, v77, v11
	v_mul_f32_e32 v30, v79, v15
	;; [unrolled: 1-line block ×3, first 2 shown]
	v_fma_f32 v6, v74, v7, -v6
	v_cvt_f64_f32_e32 v[22:23], v24
	v_fmac_f32_e32 v28, v76, v10
	v_fmac_f32_e32 v30, v78, v14
	v_fma_f32 v31, v78, v15, -v31
	v_cvt_f64_f32_e32 v[24:25], v25
	v_cvt_f64_f32_e32 v[6:7], v6
	;; [unrolled: 1-line block ×3, first 2 shown]
	v_mul_f64 v[8:9], v[8:9], s[2:3]
	v_cvt_f64_f32_e32 v[26:27], v26
	v_cvt_f64_f32_e32 v[10:11], v28
	;; [unrolled: 1-line block ×4, first 2 shown]
	s_add_i32 s1, s1, s0
	s_mul_i32 s0, s8, 0x18c
	v_mul_f64 v[2:3], v[2:3], s[2:3]
	v_mul_f64 v[12:13], v[12:13], s[2:3]
	s_lshl_b64 s[4:5], s[0:1], 3
	v_cvt_f32_f64_e32 v18, v[18:19]
	v_cvt_f32_f64_e32 v19, v[20:21]
	s_mul_i32 s1, s9, 0xfffffc0c
	global_store_dwordx2 v[0:1], v[4:5], off
	v_mul_f64 v[22:23], v[22:23], s[2:3]
	v_mul_f64 v[20:21], v[24:25], s[2:3]
	;; [unrolled: 1-line block ×4, first 2 shown]
	v_cvt_f32_f64_e32 v8, v[8:9]
	v_cvt_f32_f64_e32 v9, v[16:17]
	v_add_co_u32 v16, s0, v0, s4
	v_mul_f64 v[24:25], v[26:27], s[2:3]
	v_add_co_ci_u32_e64 v17, s0, s5, v1, s0
	v_mul_f64 v[10:11], v[10:11], s[2:3]
	v_mul_f64 v[26:27], v[28:29], s[2:3]
	;; [unrolled: 1-line block ×3, first 2 shown]
	v_add_co_u32 v30, s0, v16, s4
	v_add_co_ci_u32_e64 v31, s0, s5, v17, s0
	v_cvt_f32_f64_e32 v2, v[2:3]
	v_cvt_f32_f64_e32 v3, v[12:13]
	v_add_co_u32 v12, s0, v30, s4
	v_add_co_ci_u32_e64 v13, s0, s5, v31, s0
	s_mul_hi_u32 s0, s8, 0xfffffc0c
	v_cvt_f32_f64_e32 v22, v[22:23]
	s_sub_i32 s0, s0, s8
	v_cvt_f32_f64_e32 v23, v[20:21]
	s_add_i32 s1, s0, s1
	s_mul_i32 s0, s8, 0xfffffc0c
	v_cvt_f32_f64_e32 v21, v[6:7]
	s_lshl_b64 s[6:7], s[0:1], 3
	v_cvt_f32_f64_e32 v7, v[14:15]
	v_add_co_u32 v14, s0, v12, s6
	v_cvt_f32_f64_e32 v20, v[24:25]
	v_add_co_ci_u32_e64 v15, s0, s7, v13, s0
	v_cvt_f32_f64_e32 v6, v[10:11]
	v_cvt_f32_f64_e32 v10, v[26:27]
	;; [unrolled: 1-line block ×3, first 2 shown]
	v_add_co_u32 v4, s0, v14, s4
	v_add_co_ci_u32_e64 v5, s0, s5, v15, s0
	global_store_dwordx2 v[16:17], v[8:9], off
	v_add_co_u32 v8, s0, v4, s4
	v_add_co_ci_u32_e64 v9, s0, s5, v5, s0
	global_store_dwordx2 v[30:31], v[18:19], off
	;; [unrolled: 3-line block ×3, first 2 shown]
	global_store_dwordx2 v[14:15], v[22:23], off
	global_store_dwordx2 v[4:5], v[20:21], off
	;; [unrolled: 1-line block ×4, first 2 shown]
	s_and_b32 exec_lo, exec_lo, vcc_lo
	s_cbranch_execz .LBB0_39
; %bb.38:
	s_clause 0x3
	global_load_dwordx2 v[2:3], v[69:70], off offset:768
	global_load_dwordx2 v[4:5], v[67:68], off offset:1888
	;; [unrolled: 1-line block ×4, first 2 shown]
	ds_read_b64 v[10:11], v94 offset:2816
	ds_read_b64 v[12:13], v94 offset:5984
	;; [unrolled: 1-line block ×4, first 2 shown]
	v_add_co_u32 v0, vcc_lo, v0, s6
	v_add_co_ci_u32_e32 v1, vcc_lo, s7, v1, vcc_lo
	s_waitcnt vmcnt(3) lgkmcnt(3)
	v_mul_f32_e32 v18, v11, v3
	v_mul_f32_e32 v3, v10, v3
	s_waitcnt vmcnt(2) lgkmcnt(2)
	v_mul_f32_e32 v19, v13, v5
	v_mul_f32_e32 v5, v12, v5
	;; [unrolled: 3-line block ×4, first 2 shown]
	v_fmac_f32_e32 v18, v10, v2
	v_fma_f32 v10, v2, v11, -v3
	v_fmac_f32_e32 v19, v12, v4
	v_fma_f32 v11, v4, v13, -v5
	;; [unrolled: 2-line block ×4, first 2 shown]
	v_cvt_f64_f32_e32 v[2:3], v18
	v_cvt_f64_f32_e32 v[4:5], v10
	;; [unrolled: 1-line block ×8, first 2 shown]
	v_mul_f64 v[2:3], v[2:3], s[2:3]
	v_mul_f64 v[4:5], v[4:5], s[2:3]
	;; [unrolled: 1-line block ×8, first 2 shown]
	v_cvt_f32_f64_e32 v2, v[2:3]
	v_cvt_f32_f64_e32 v3, v[4:5]
	;; [unrolled: 1-line block ×8, first 2 shown]
	v_add_co_u32 v10, vcc_lo, v0, s4
	v_add_co_ci_u32_e32 v11, vcc_lo, s5, v1, vcc_lo
	v_add_co_u32 v12, vcc_lo, v10, s4
	v_add_co_ci_u32_e32 v13, vcc_lo, s5, v11, vcc_lo
	;; [unrolled: 2-line block ×3, first 2 shown]
	global_store_dwordx2 v[0:1], v[2:3], off
	global_store_dwordx2 v[10:11], v[4:5], off
	;; [unrolled: 1-line block ×4, first 2 shown]
.LBB0_39:
	s_endpgm
	.section	.rodata,"a",@progbits
	.p2align	6, 0x0
	.amdhsa_kernel bluestein_single_fwd_len1584_dim1_sp_op_CI_CI
		.amdhsa_group_segment_fixed_size 12672
		.amdhsa_private_segment_fixed_size 0
		.amdhsa_kernarg_size 104
		.amdhsa_user_sgpr_count 6
		.amdhsa_user_sgpr_private_segment_buffer 1
		.amdhsa_user_sgpr_dispatch_ptr 0
		.amdhsa_user_sgpr_queue_ptr 0
		.amdhsa_user_sgpr_kernarg_segment_ptr 1
		.amdhsa_user_sgpr_dispatch_id 0
		.amdhsa_user_sgpr_flat_scratch_init 0
		.amdhsa_user_sgpr_private_segment_size 0
		.amdhsa_wavefront_size32 1
		.amdhsa_uses_dynamic_stack 0
		.amdhsa_system_sgpr_private_segment_wavefront_offset 0
		.amdhsa_system_sgpr_workgroup_id_x 1
		.amdhsa_system_sgpr_workgroup_id_y 0
		.amdhsa_system_sgpr_workgroup_id_z 0
		.amdhsa_system_sgpr_workgroup_info 0
		.amdhsa_system_vgpr_workitem_id 0
		.amdhsa_next_free_vgpr 183
		.amdhsa_next_free_sgpr 16
		.amdhsa_reserve_vcc 1
		.amdhsa_reserve_flat_scratch 0
		.amdhsa_float_round_mode_32 0
		.amdhsa_float_round_mode_16_64 0
		.amdhsa_float_denorm_mode_32 3
		.amdhsa_float_denorm_mode_16_64 3
		.amdhsa_dx10_clamp 1
		.amdhsa_ieee_mode 1
		.amdhsa_fp16_overflow 0
		.amdhsa_workgroup_processor_mode 1
		.amdhsa_memory_ordered 1
		.amdhsa_forward_progress 0
		.amdhsa_shared_vgpr_count 0
		.amdhsa_exception_fp_ieee_invalid_op 0
		.amdhsa_exception_fp_denorm_src 0
		.amdhsa_exception_fp_ieee_div_zero 0
		.amdhsa_exception_fp_ieee_overflow 0
		.amdhsa_exception_fp_ieee_underflow 0
		.amdhsa_exception_fp_ieee_inexact 0
		.amdhsa_exception_int_div_zero 0
	.end_amdhsa_kernel
	.text
.Lfunc_end0:
	.size	bluestein_single_fwd_len1584_dim1_sp_op_CI_CI, .Lfunc_end0-bluestein_single_fwd_len1584_dim1_sp_op_CI_CI
                                        ; -- End function
	.section	.AMDGPU.csdata,"",@progbits
; Kernel info:
; codeLenInByte = 13044
; NumSgprs: 18
; NumVgprs: 183
; ScratchSize: 0
; MemoryBound: 0
; FloatMode: 240
; IeeeMode: 1
; LDSByteSize: 12672 bytes/workgroup (compile time only)
; SGPRBlocks: 2
; VGPRBlocks: 22
; NumSGPRsForWavesPerEU: 18
; NumVGPRsForWavesPerEU: 183
; Occupancy: 5
; WaveLimiterHint : 1
; COMPUTE_PGM_RSRC2:SCRATCH_EN: 0
; COMPUTE_PGM_RSRC2:USER_SGPR: 6
; COMPUTE_PGM_RSRC2:TRAP_HANDLER: 0
; COMPUTE_PGM_RSRC2:TGID_X_EN: 1
; COMPUTE_PGM_RSRC2:TGID_Y_EN: 0
; COMPUTE_PGM_RSRC2:TGID_Z_EN: 0
; COMPUTE_PGM_RSRC2:TIDIG_COMP_CNT: 0
	.text
	.p2alignl 6, 3214868480
	.fill 48, 4, 3214868480
	.type	__hip_cuid_b77115673164e1a5,@object ; @__hip_cuid_b77115673164e1a5
	.section	.bss,"aw",@nobits
	.globl	__hip_cuid_b77115673164e1a5
__hip_cuid_b77115673164e1a5:
	.byte	0                               ; 0x0
	.size	__hip_cuid_b77115673164e1a5, 1

	.ident	"AMD clang version 19.0.0git (https://github.com/RadeonOpenCompute/llvm-project roc-6.4.0 25133 c7fe45cf4b819c5991fe208aaa96edf142730f1d)"
	.section	".note.GNU-stack","",@progbits
	.addrsig
	.addrsig_sym __hip_cuid_b77115673164e1a5
	.amdgpu_metadata
---
amdhsa.kernels:
  - .args:
      - .actual_access:  read_only
        .address_space:  global
        .offset:         0
        .size:           8
        .value_kind:     global_buffer
      - .actual_access:  read_only
        .address_space:  global
        .offset:         8
        .size:           8
        .value_kind:     global_buffer
      - .actual_access:  read_only
        .address_space:  global
        .offset:         16
        .size:           8
        .value_kind:     global_buffer
      - .actual_access:  read_only
        .address_space:  global
        .offset:         24
        .size:           8
        .value_kind:     global_buffer
      - .actual_access:  read_only
        .address_space:  global
        .offset:         32
        .size:           8
        .value_kind:     global_buffer
      - .offset:         40
        .size:           8
        .value_kind:     by_value
      - .address_space:  global
        .offset:         48
        .size:           8
        .value_kind:     global_buffer
      - .address_space:  global
        .offset:         56
        .size:           8
        .value_kind:     global_buffer
      - .address_space:  global
        .offset:         64
        .size:           8
        .value_kind:     global_buffer
      - .address_space:  global
        .offset:         72
        .size:           8
        .value_kind:     global_buffer
      - .offset:         80
        .size:           4
        .value_kind:     by_value
      - .address_space:  global
        .offset:         88
        .size:           8
        .value_kind:     global_buffer
      - .address_space:  global
        .offset:         96
        .size:           8
        .value_kind:     global_buffer
    .group_segment_fixed_size: 12672
    .kernarg_segment_align: 8
    .kernarg_segment_size: 104
    .language:       OpenCL C
    .language_version:
      - 2
      - 0
    .max_flat_workgroup_size: 176
    .name:           bluestein_single_fwd_len1584_dim1_sp_op_CI_CI
    .private_segment_fixed_size: 0
    .sgpr_count:     18
    .sgpr_spill_count: 0
    .symbol:         bluestein_single_fwd_len1584_dim1_sp_op_CI_CI.kd
    .uniform_work_group_size: 1
    .uses_dynamic_stack: false
    .vgpr_count:     183
    .vgpr_spill_count: 0
    .wavefront_size: 32
    .workgroup_processor_mode: 1
amdhsa.target:   amdgcn-amd-amdhsa--gfx1030
amdhsa.version:
  - 1
  - 2
...

	.end_amdgpu_metadata
